;; amdgpu-corpus repo=ROCm/rocFFT kind=compiled arch=gfx950 opt=O3
	.text
	.amdgcn_target "amdgcn-amd-amdhsa--gfx950"
	.amdhsa_code_object_version 6
	.protected	fft_rtc_back_len1078_factors_2_11_7_7_wgs_231_tpt_77_halfLds_dp_ip_CI_sbrr_dirReg ; -- Begin function fft_rtc_back_len1078_factors_2_11_7_7_wgs_231_tpt_77_halfLds_dp_ip_CI_sbrr_dirReg
	.globl	fft_rtc_back_len1078_factors_2_11_7_7_wgs_231_tpt_77_halfLds_dp_ip_CI_sbrr_dirReg
	.p2align	8
	.type	fft_rtc_back_len1078_factors_2_11_7_7_wgs_231_tpt_77_halfLds_dp_ip_CI_sbrr_dirReg,@function
fft_rtc_back_len1078_factors_2_11_7_7_wgs_231_tpt_77_halfLds_dp_ip_CI_sbrr_dirReg: ; @fft_rtc_back_len1078_factors_2_11_7_7_wgs_231_tpt_77_halfLds_dp_ip_CI_sbrr_dirReg
; %bb.0:
	s_load_dwordx2 s[12:13], s[0:1], 0x18
	s_load_dwordx4 s[4:7], s[0:1], 0x0
	s_load_dwordx2 s[10:11], s[0:1], 0x50
	v_mul_u32_u24_e32 v1, 0x354, v0
	v_lshrrev_b32_e32 v2, 16, v1
	s_waitcnt lgkmcnt(0)
	s_load_dwordx2 s[8:9], s[12:13], 0x0
	v_mad_u64_u32 v[2:3], s[2:3], s2, 3, v[2:3]
	v_mov_b32_e32 v6, 0
	v_mov_b32_e32 v3, v6
	v_cmp_lt_u64_e64 s[2:3], s[6:7], 2
	s_and_b64 vcc, exec, s[2:3]
	v_mov_b64_e32 v[4:5], 0
	v_mov_b64_e32 v[10:11], v[2:3]
	s_cbranch_vccnz .LBB0_8
; %bb.1:
	s_load_dwordx2 s[2:3], s[0:1], 0x10
	s_add_u32 s14, s12, 8
	s_addc_u32 s15, s13, 0
	s_mov_b64 s[16:17], 1
	v_mov_b64_e32 v[4:5], 0
	s_waitcnt lgkmcnt(0)
	s_add_u32 s18, s2, 8
	s_addc_u32 s19, s3, 0
	v_mov_b64_e32 v[8:9], v[2:3]
.LBB0_2:                                ; =>This Inner Loop Header: Depth=1
	s_load_dwordx2 s[20:21], s[18:19], 0x0
                                        ; implicit-def: $vgpr10_vgpr11
	s_waitcnt lgkmcnt(0)
	v_or_b32_e32 v7, s21, v9
	v_cmp_ne_u64_e32 vcc, 0, v[6:7]
	s_and_saveexec_b64 s[2:3], vcc
	s_xor_b64 s[22:23], exec, s[2:3]
	s_cbranch_execz .LBB0_4
; %bb.3:                                ;   in Loop: Header=BB0_2 Depth=1
	v_cvt_f32_u32_e32 v1, s20
	v_cvt_f32_u32_e32 v3, s21
	s_sub_u32 s2, 0, s20
	s_subb_u32 s3, 0, s21
	v_fmac_f32_e32 v1, 0x4f800000, v3
	v_rcp_f32_e32 v1, v1
	s_nop 0
	v_mul_f32_e32 v1, 0x5f7ffffc, v1
	v_mul_f32_e32 v3, 0x2f800000, v1
	v_trunc_f32_e32 v3, v3
	v_fmac_f32_e32 v1, 0xcf800000, v3
	v_cvt_u32_f32_e32 v3, v3
	v_cvt_u32_f32_e32 v1, v1
	v_mul_lo_u32 v7, s2, v3
	v_mul_hi_u32 v10, s2, v1
	v_mul_lo_u32 v11, s3, v1
	v_add_u32_e32 v7, v10, v7
	v_mul_lo_u32 v14, s2, v1
	v_add_u32_e32 v7, v7, v11
	v_mul_hi_u32 v10, v1, v14
	v_mul_hi_u32 v13, v1, v7
	v_mul_lo_u32 v12, v1, v7
	v_mov_b32_e32 v11, v6
	v_lshl_add_u64 v[10:11], v[10:11], 0, v[12:13]
	v_mul_hi_u32 v13, v3, v14
	v_mul_lo_u32 v14, v3, v14
	v_add_co_u32_e32 v10, vcc, v10, v14
	v_mul_hi_u32 v12, v3, v7
	s_nop 0
	v_addc_co_u32_e32 v10, vcc, v11, v13, vcc
	v_mov_b32_e32 v11, v6
	s_nop 0
	v_addc_co_u32_e32 v13, vcc, 0, v12, vcc
	v_mul_lo_u32 v12, v3, v7
	v_lshl_add_u64 v[10:11], v[10:11], 0, v[12:13]
	v_add_co_u32_e32 v1, vcc, v1, v10
	v_mul_hi_u32 v10, s2, v1
	s_nop 0
	v_addc_co_u32_e32 v3, vcc, v3, v11, vcc
	v_mul_lo_u32 v7, s2, v3
	v_add_u32_e32 v7, v10, v7
	v_mul_lo_u32 v10, s3, v1
	v_add_u32_e32 v7, v7, v10
	v_mul_lo_u32 v12, s2, v1
	v_mul_hi_u32 v15, v3, v12
	v_mul_lo_u32 v16, v3, v12
	v_mul_hi_u32 v11, v1, v7
	;; [unrolled: 2-line block ×3, first 2 shown]
	v_mov_b32_e32 v13, v6
	v_lshl_add_u64 v[10:11], v[12:13], 0, v[10:11]
	v_add_co_u32_e32 v10, vcc, v10, v16
	v_mul_hi_u32 v14, v3, v7
	s_nop 0
	v_addc_co_u32_e32 v10, vcc, v11, v15, vcc
	v_mul_lo_u32 v12, v3, v7
	s_nop 0
	v_addc_co_u32_e32 v13, vcc, 0, v14, vcc
	v_mov_b32_e32 v11, v6
	v_lshl_add_u64 v[10:11], v[10:11], 0, v[12:13]
	v_add_co_u32_e32 v1, vcc, v1, v10
	v_mul_hi_u32 v12, v8, v1
	s_nop 0
	v_addc_co_u32_e32 v3, vcc, v3, v11, vcc
	v_mad_u64_u32 v[10:11], s[2:3], v8, v3, 0
	v_mov_b32_e32 v13, v6
	v_lshl_add_u64 v[10:11], v[12:13], 0, v[10:11]
	v_mad_u64_u32 v[14:15], s[2:3], v9, v1, 0
	v_add_co_u32_e32 v1, vcc, v10, v14
	v_mad_u64_u32 v[12:13], s[2:3], v9, v3, 0
	s_nop 0
	v_addc_co_u32_e32 v10, vcc, v11, v15, vcc
	v_mov_b32_e32 v11, v6
	s_nop 0
	v_addc_co_u32_e32 v13, vcc, 0, v13, vcc
	v_lshl_add_u64 v[10:11], v[10:11], 0, v[12:13]
	v_mul_lo_u32 v1, s21, v10
	v_mul_lo_u32 v3, s20, v11
	v_mad_u64_u32 v[12:13], s[2:3], s20, v10, 0
	v_add3_u32 v1, v13, v3, v1
	v_sub_u32_e32 v3, v9, v1
	v_mov_b32_e32 v7, s21
	v_sub_co_u32_e32 v16, vcc, v8, v12
	v_lshl_add_u64 v[14:15], v[10:11], 0, 1
	s_nop 0
	v_subb_co_u32_e64 v3, s[2:3], v3, v7, vcc
	v_subrev_co_u32_e64 v7, s[2:3], s20, v16
	v_subb_co_u32_e32 v1, vcc, v9, v1, vcc
	s_nop 0
	v_subbrev_co_u32_e64 v3, s[2:3], 0, v3, s[2:3]
	v_cmp_le_u32_e64 s[2:3], s21, v3
	v_cmp_le_u32_e32 vcc, s21, v1
	s_nop 0
	v_cndmask_b32_e64 v12, 0, -1, s[2:3]
	v_cmp_le_u32_e64 s[2:3], s20, v7
	s_nop 1
	v_cndmask_b32_e64 v7, 0, -1, s[2:3]
	v_cmp_eq_u32_e64 s[2:3], s21, v3
	s_nop 1
	v_cndmask_b32_e64 v3, v12, v7, s[2:3]
	v_lshl_add_u64 v[12:13], v[10:11], 0, 2
	v_cmp_ne_u32_e64 s[2:3], 0, v3
	v_cndmask_b32_e64 v7, 0, -1, vcc
	v_cmp_le_u32_e32 vcc, s20, v16
	v_cndmask_b32_e64 v3, v15, v13, s[2:3]
	s_nop 0
	v_cndmask_b32_e64 v13, 0, -1, vcc
	v_cmp_eq_u32_e32 vcc, s21, v1
	s_nop 1
	v_cndmask_b32_e32 v1, v7, v13, vcc
	v_cmp_ne_u32_e32 vcc, 0, v1
	v_cndmask_b32_e64 v1, v14, v12, s[2:3]
	s_nop 0
	v_cndmask_b32_e32 v11, v11, v3, vcc
	v_cndmask_b32_e32 v10, v10, v1, vcc
.LBB0_4:                                ;   in Loop: Header=BB0_2 Depth=1
	s_andn2_saveexec_b64 s[2:3], s[22:23]
	s_cbranch_execz .LBB0_6
; %bb.5:                                ;   in Loop: Header=BB0_2 Depth=1
	v_cvt_f32_u32_e32 v1, s20
	s_sub_i32 s22, 0, s20
	v_mov_b32_e32 v11, v6
	v_rcp_iflag_f32_e32 v1, v1
	s_nop 0
	v_mul_f32_e32 v1, 0x4f7ffffe, v1
	v_cvt_u32_f32_e32 v1, v1
	v_mul_lo_u32 v3, s22, v1
	v_mul_hi_u32 v3, v1, v3
	v_add_u32_e32 v1, v1, v3
	v_mul_hi_u32 v1, v8, v1
	v_mul_lo_u32 v3, v1, s20
	v_sub_u32_e32 v3, v8, v3
	v_add_u32_e32 v7, 1, v1
	v_subrev_u32_e32 v10, s20, v3
	v_cmp_le_u32_e32 vcc, s20, v3
	s_nop 1
	v_cndmask_b32_e32 v3, v3, v10, vcc
	v_cndmask_b32_e32 v1, v1, v7, vcc
	v_add_u32_e32 v7, 1, v1
	v_cmp_le_u32_e32 vcc, s20, v3
	s_nop 1
	v_cndmask_b32_e32 v10, v1, v7, vcc
.LBB0_6:                                ;   in Loop: Header=BB0_2 Depth=1
	s_or_b64 exec, exec, s[2:3]
	v_mad_u64_u32 v[12:13], s[2:3], v10, s20, 0
	s_load_dwordx2 s[2:3], s[14:15], 0x0
	s_add_u32 s16, s16, 1
	v_mul_lo_u32 v1, v11, s20
	v_mul_lo_u32 v3, v10, s21
	s_addc_u32 s17, s17, 0
	v_add3_u32 v1, v13, v3, v1
	v_sub_co_u32_e32 v3, vcc, v8, v12
	s_add_u32 s14, s14, 8
	s_nop 0
	v_subb_co_u32_e32 v1, vcc, v9, v1, vcc
	s_addc_u32 s15, s15, 0
	v_mov_b64_e32 v[8:9], s[6:7]
	s_waitcnt lgkmcnt(0)
	v_mul_lo_u32 v1, s2, v1
	v_mul_lo_u32 v7, s3, v3
	v_mad_u64_u32 v[4:5], s[2:3], s2, v3, v[4:5]
	s_add_u32 s18, s18, 8
	v_cmp_ge_u64_e32 vcc, s[16:17], v[8:9]
	v_add3_u32 v5, v7, v5, v1
	s_addc_u32 s19, s19, 0
	s_cbranch_vccnz .LBB0_8
; %bb.7:                                ;   in Loop: Header=BB0_2 Depth=1
	v_mov_b64_e32 v[8:9], v[10:11]
	s_branch .LBB0_2
.LBB0_8:
	s_lshl_b64 s[2:3], s[6:7], 3
	s_add_u32 s2, s12, s2
	s_addc_u32 s3, s13, s3
	s_load_dwordx2 s[6:7], s[2:3], 0x0
	s_load_dwordx2 s[12:13], s[0:1], 0x20
	s_mov_b32 s2, 0x3531ded
                                        ; implicit-def: $vgpr105
                                        ; implicit-def: $vgpr109
                                        ; implicit-def: $vgpr110
                                        ; implicit-def: $vgpr111
	s_waitcnt lgkmcnt(0)
	v_mul_lo_u32 v1, s6, v11
	v_mul_lo_u32 v3, s7, v10
	v_mad_u64_u32 v[4:5], s[0:1], s6, v10, v[4:5]
	v_add3_u32 v5, v3, v5, v1
	v_mul_hi_u32 v1, v0, s2
	v_mul_u32_u24_e32 v1, 0x4d, v1
	v_cmp_gt_u64_e32 vcc, s[12:13], v[10:11]
	v_cmp_le_u64_e64 s[0:1], s[12:13], v[10:11]
	v_sub_u32_e32 v104, v0, v1
	s_and_saveexec_b64 s[2:3], s[0:1]
	s_xor_b64 s[0:1], exec, s[2:3]
; %bb.9:
	v_add_u32_e32 v105, 0x4d, v104
	v_add_u32_e32 v109, 0x9a, v104
	;; [unrolled: 1-line block ×4, first 2 shown]
; %bb.10:
	s_or_saveexec_b64 s[0:1], s[0:1]
	v_lshl_add_u64 v[94:95], v[4:5], 4, s[10:11]
                                        ; implicit-def: $vgpr88_vgpr89
                                        ; implicit-def: $vgpr80_vgpr81
                                        ; implicit-def: $vgpr92_vgpr93
                                        ; implicit-def: $vgpr84_vgpr85
                                        ; implicit-def: $vgpr74_vgpr75
                                        ; implicit-def: $vgpr70_vgpr71
                                        ; implicit-def: $vgpr64_vgpr65
                                        ; implicit-def: $vgpr60_vgpr61
                                        ; implicit-def: $vgpr48_vgpr49
                                        ; implicit-def: $vgpr44_vgpr45
                                        ; implicit-def: $vgpr38_vgpr39
                                        ; implicit-def: $vgpr34_vgpr35
                                        ; implicit-def: $vgpr30_vgpr31
                                        ; implicit-def: $vgpr26_vgpr27
	s_xor_b64 exec, exec, s[0:1]
	s_cbranch_execz .LBB0_12
; %bb.11:
	v_mad_u64_u32 v[0:1], s[2:3], s8, v104, 0
	v_mov_b32_e32 v4, v1
	v_mad_u64_u32 v[4:5], s[2:3], s9, v104, v[4:5]
	v_add_u32_e32 v3, 0x21b, v104
	v_mov_b32_e32 v1, v4
	v_mad_u64_u32 v[4:5], s[2:3], s8, v3, 0
	v_mov_b32_e32 v6, v5
	v_mad_u64_u32 v[6:7], s[2:3], s9, v3, v[6:7]
	v_lshl_add_u64 v[0:1], v[0:1], 4, v[94:95]
	v_mov_b32_e32 v5, v6
	v_add_u32_e32 v105, 0x4d, v104
	v_lshl_add_u64 v[4:5], v[4:5], 4, v[94:95]
	global_load_dwordx4 v[24:27], v[0:1], off
	global_load_dwordx4 v[28:31], v[4:5], off
	v_mad_u64_u32 v[0:1], s[2:3], s8, v105, 0
	v_mov_b32_e32 v4, v1
	v_mad_u64_u32 v[4:5], s[2:3], s9, v105, v[4:5]
	v_add_u32_e32 v3, 0x268, v104
	v_mov_b32_e32 v1, v4
	v_mad_u64_u32 v[4:5], s[2:3], s8, v3, 0
	v_mov_b32_e32 v6, v5
	v_mad_u64_u32 v[6:7], s[2:3], s9, v3, v[6:7]
	v_lshl_add_u64 v[0:1], v[0:1], 4, v[94:95]
	v_mov_b32_e32 v5, v6
	v_add_u32_e32 v109, 0x9a, v104
	v_lshl_add_u64 v[4:5], v[4:5], 4, v[94:95]
	global_load_dwordx4 v[32:35], v[0:1], off
	global_load_dwordx4 v[36:39], v[4:5], off
	;; [unrolled: 14-line block ×5, first 2 shown]
	v_mad_u64_u32 v[0:1], s[2:3], s8, v3, 0
	v_mov_b32_e32 v4, v1
	v_mad_u64_u32 v[4:5], s[2:3], s9, v3, v[4:5]
	v_add_u32_e32 v3, 0x39c, v104
	v_mov_b32_e32 v1, v4
	v_mad_u64_u32 v[4:5], s[2:3], s8, v3, 0
	v_mov_b32_e32 v6, v5
	v_mad_u64_u32 v[6:7], s[2:3], s9, v3, v[6:7]
	v_add_u32_e32 v111, 0x1ce, v104
	v_mov_b32_e32 v5, v6
	;; [unrolled: 5-line block ×3, first 2 shown]
	v_mad_u64_u32 v[8:9], s[2:3], s8, v3, 0
	v_mov_b32_e32 v10, v9
	v_lshl_add_u64 v[0:1], v[0:1], 4, v[94:95]
	v_mad_u64_u32 v[10:11], s[2:3], s9, v3, v[10:11]
	v_lshl_add_u64 v[4:5], v[4:5], 4, v[94:95]
	v_mov_b32_e32 v9, v10
	global_load_dwordx4 v[82:85], v[0:1], off
	global_load_dwordx4 v[90:93], v[4:5], off
	v_lshl_add_u64 v[0:1], v[6:7], 4, v[94:95]
	v_lshl_add_u64 v[4:5], v[8:9], 4, v[94:95]
	global_load_dwordx4 v[78:81], v[0:1], off
	global_load_dwordx4 v[86:89], v[4:5], off
.LBB0_12:
	s_or_b64 exec, exec, s[0:1]
	s_mov_b32 s0, 0xaaaaaaab
	v_mul_hi_u32 v0, v2, s0
	v_lshrrev_b32_e32 v0, 1, v0
	v_lshl_add_u32 v0, v0, 1, v0
	v_sub_u32_e32 v0, v2, v0
	v_mul_u32_u24_e32 v4, 0x436, v0
	v_lshlrev_b32_e32 v108, 3, v4
	s_waitcnt vmcnt(12)
	v_add_f64 v[2:3], v[24:25], -v[28:29]
	v_add_u32_e32 v6, 0, v108
	v_fma_f64 v[0:1], v[24:25], 2.0, -v[2:3]
	v_lshl_add_u32 v28, v104, 4, v6
	ds_write_b128 v28, v[0:3]
	s_waitcnt vmcnt(10)
	v_add_f64 v[2:3], v[32:33], -v[36:37]
	v_fma_f64 v[0:1], v[32:33], 2.0, -v[2:3]
	v_lshl_add_u32 v29, v105, 4, v6
	ds_write_b128 v29, v[0:3]
	s_waitcnt vmcnt(8)
	v_add_f64 v[2:3], v[42:43], -v[46:47]
	;; [unrolled: 5-line block ×3, first 2 shown]
	v_fma_f64 v[0:1], v[58:59], 2.0, -v[2:3]
	ds_write_b128 v28, v[0:3] offset:3696
	s_waitcnt vmcnt(4)
	v_add_f64 v[2:3], v[68:69], -v[72:73]
	v_fma_f64 v[0:1], v[68:69], 2.0, -v[2:3]
	v_lshl_add_u32 v33, v110, 4, v6
	ds_write_b128 v33, v[0:3]
	s_waitcnt vmcnt(2)
	v_add_f64 v[4:5], v[82:83], -v[90:91]
	s_waitcnt vmcnt(0)
	v_add_f64 v[24:25], v[78:79], -v[86:87]
	v_lshlrev_b32_e32 v0, 3, v104
	v_fma_f64 v[2:3], v[82:83], 2.0, -v[4:5]
	v_fma_f64 v[22:23], v[78:79], 2.0, -v[24:25]
	v_lshl_add_u32 v36, v111, 4, v6
	v_add_u32_e32 v106, v6, v0
	v_add3_u32 v107, 0, v0, v108
	ds_write_b128 v28, v[2:5] offset:6160
	ds_write_b128 v36, v[22:25]
	s_waitcnt lgkmcnt(0)
	s_barrier
	v_add_u32_e32 v37, 0x800, v107
	v_add_u32_e32 v46, 0xc00, v107
	;; [unrolled: 1-line block ×4, first 2 shown]
	ds_read_b64 v[96:97], v106
	ds_read2_b64 v[76:79], v107 offset0:98 offset1:196
	ds_read2_b64 v[66:69], v37 offset0:38 offset1:136
	;; [unrolled: 1-line block ×5, first 2 shown]
	v_cmp_gt_u32_e64 s[0:1], 21, v104
	v_lshlrev_b32_e32 v112, 3, v105
                                        ; implicit-def: $vgpr8_vgpr9
                                        ; implicit-def: $vgpr12_vgpr13
                                        ; implicit-def: $vgpr16_vgpr17
                                        ; implicit-def: $vgpr20_vgpr21
	s_and_saveexec_b64 s[2:3], s[0:1]
	s_cbranch_execz .LBB0_14
; %bb.13:
	v_add3_u32 v0, 0, v112, v108
	ds_read_b64 v[4:5], v0
	v_add_u32_e32 v0, 0x400, v107
	ds_read2_b64 v[22:25], v0 offset0:47 offset1:145
	ds_read2_b64 v[18:21], v37 offset0:115 offset1:213
	v_add_u32_e32 v0, 0x1000, v107
	ds_read2_b64 v[14:17], v0 offset0:55 offset1:153
	ds_read2_b64 v[10:13], v47 offset0:123 offset1:221
	v_add_u32_e32 v0, 0x1c00, v107
	ds_read2_b64 v[6:9], v0 offset0:63 offset1:161
.LBB0_14:
	s_or_b64 exec, exec, s[2:3]
	v_add_f64 v[100:101], v[26:27], -v[30:31]
	v_add_f64 v[72:73], v[70:71], -v[74:75]
	;; [unrolled: 1-line block ×3, first 2 shown]
	v_fma_f64 v[98:99], v[26:27], 2.0, -v[100:101]
	v_add_f64 v[116:117], v[34:35], -v[38:39]
	v_add_f64 v[120:121], v[44:45], -v[48:49]
	;; [unrolled: 1-line block ×3, first 2 shown]
	v_fma_f64 v[70:71], v[70:71], 2.0, -v[72:73]
	v_fma_f64 v[0:1], v[84:85], 2.0, -v[2:3]
	v_add_f64 v[50:51], v[80:81], -v[88:89]
	v_fma_f64 v[114:115], v[34:35], 2.0, -v[116:117]
	v_fma_f64 v[118:119], v[44:45], 2.0, -v[120:121]
	;; [unrolled: 1-line block ×4, first 2 shown]
	s_waitcnt lgkmcnt(0)
	s_barrier
	ds_write_b128 v28, v[98:101]
	ds_write_b128 v29, v[114:117]
	;; [unrolled: 1-line block ×3, first 2 shown]
	ds_write_b128 v28, v[122:125] offset:3696
	ds_write_b128 v33, v[70:73]
	ds_write_b128 v28, v[0:3] offset:6160
	ds_write_b128 v36, v[48:51]
	s_waitcnt lgkmcnt(0)
	s_barrier
	ds_read_b64 v[0:1], v106
	ds_read2_b64 v[88:91], v107 offset0:98 offset1:196
	ds_read2_b64 v[84:87], v37 offset0:38 offset1:136
	;; [unrolled: 1-line block ×5, first 2 shown]
                                        ; implicit-def: $vgpr28_vgpr29
                                        ; implicit-def: $vgpr32_vgpr33
                                        ; implicit-def: $vgpr36_vgpr37
                                        ; implicit-def: $vgpr46_vgpr47
	s_and_saveexec_b64 s[2:3], s[0:1]
	s_cbranch_execz .LBB0_16
; %bb.15:
	v_add_u32_e32 v26, 0x400, v107
	ds_read2_b64 v[48:51], v26 offset0:47 offset1:145
	v_add_u32_e32 v26, 0x800, v107
	ds_read2_b64 v[44:47], v26 offset0:115 offset1:213
	;; [unrolled: 2-line block ×3, first 2 shown]
	v_add_u32_e32 v26, 0x1400, v107
	v_add3_u32 v2, 0, v112, v108
	ds_read2_b64 v[30:33], v26 offset0:123 offset1:221
	v_add_u32_e32 v26, 0x1c00, v107
	ds_read_b64 v[2:3], v2
	ds_read2_b64 v[26:29], v26 offset0:63 offset1:161
.LBB0_16:
	s_or_b64 exec, exec, s[2:3]
	v_and_b32_e32 v114, 1, v104
	v_mul_u32_u24_e32 v38, 10, v114
	v_lshlrev_b32_e32 v102, 4, v38
	global_load_dwordx4 v[98:101], v102, s[4:5]
	global_load_dwordx4 v[116:119], v102, s[4:5] offset:16
	global_load_dwordx4 v[120:123], v102, s[4:5] offset:32
	;; [unrolled: 1-line block ×5, first 2 shown]
	v_and_b32_e32 v113, 1, v105
	s_mov_b32 s2, 0xf8bb580b
	s_mov_b32 s6, 0x8eee2c13
	;; [unrolled: 1-line block ×28, first 2 shown]
	s_waitcnt vmcnt(5) lgkmcnt(4)
	v_mul_f64 v[74:75], v[88:89], v[100:101]
	v_mul_f64 v[38:39], v[76:77], v[100:101]
	v_fmac_f64_e32 v[74:75], v[76:77], v[98:99]
	v_fma_f64 v[76:77], v[88:89], v[98:99], -v[38:39]
	global_load_dwordx4 v[98:101], v102, s[4:5] offset:96
	s_waitcnt vmcnt(5)
	v_mul_f64 v[92:93], v[90:91], v[118:119]
	v_mul_f64 v[38:39], v[78:79], v[118:119]
	v_fmac_f64_e32 v[92:93], v[78:79], v[116:117]
	v_fma_f64 v[90:91], v[90:91], v[116:117], -v[38:39]
	global_load_dwordx4 v[116:119], v102, s[4:5] offset:112
	v_mul_u32_u24_e32 v38, 10, v113
	v_lshlrev_b32_e32 v103, 4, v38
	s_waitcnt vmcnt(5) lgkmcnt(3)
	v_mul_f64 v[88:89], v[84:85], v[122:123]
	v_mul_f64 v[38:39], v[66:67], v[122:123]
	v_fmac_f64_e32 v[88:89], v[66:67], v[120:121]
	v_fma_f64 v[84:85], v[84:85], v[120:121], -v[38:39]
	s_waitcnt vmcnt(4)
	v_mul_f64 v[64:65], v[86:87], v[126:127]
	v_mul_f64 v[38:39], v[68:69], v[126:127]
	global_load_dwordx4 v[120:123], v102, s[4:5] offset:128
	v_fmac_f64_e32 v[64:65], v[68:69], v[124:125]
	v_fma_f64 v[78:79], v[86:87], v[124:125], -v[38:39]
	global_load_dwordx4 v[124:127], v102, s[4:5] offset:144
	s_waitcnt vmcnt(5) lgkmcnt(2)
	v_mul_f64 v[66:67], v[80:81], v[130:131]
	v_mul_f64 v[38:39], v[56:57], v[130:131]
	v_fmac_f64_e32 v[66:67], v[56:57], v[128:129]
	v_fma_f64 v[56:57], v[80:81], v[128:129], -v[38:39]
	s_waitcnt vmcnt(4)
	v_mul_f64 v[68:69], v[82:83], v[134:135]
	v_mul_f64 v[38:39], v[58:59], v[134:135]
	global_load_dwordx4 v[128:131], v103, s[4:5]
	v_fmac_f64_e32 v[68:69], v[58:59], v[132:133]
	v_fma_f64 v[58:59], v[82:83], v[132:133], -v[38:39]
	global_load_dwordx4 v[132:135], v103, s[4:5] offset:16
	global_load_dwordx4 v[136:139], v103, s[4:5] offset:32
	s_waitcnt vmcnt(6)
	v_mul_f64 v[38:39], v[52:53], v[100:101]
	s_waitcnt lgkmcnt(1)
	v_mul_f64 v[80:81], v[70:71], v[100:101]
	v_fma_f64 v[70:71], v[70:71], v[98:99], -v[38:39]
	v_fmac_f64_e32 v[80:81], v[52:53], v[98:99]
	s_waitcnt vmcnt(5)
	v_mul_f64 v[82:83], v[72:73], v[118:119]
	v_mul_f64 v[38:39], v[54:55], v[118:119]
	v_fmac_f64_e32 v[82:83], v[54:55], v[116:117]
	v_fma_f64 v[72:73], v[72:73], v[116:117], -v[38:39]
	global_load_dwordx4 v[116:119], v103, s[4:5] offset:48
	s_waitcnt vmcnt(5)
	v_mul_f64 v[38:39], v[40:41], v[122:123]
	s_waitcnt lgkmcnt(0)
	v_fma_f64 v[98:99], v[60:61], v[120:121], -v[38:39]
	v_mul_f64 v[86:87], v[60:61], v[122:123]
	s_waitcnt vmcnt(4)
	v_mul_f64 v[38:39], v[42:43], v[126:127]
	v_mul_f64 v[100:101], v[62:63], v[126:127]
	v_fma_f64 v[62:63], v[62:63], v[124:125], -v[38:39]
	v_fmac_f64_e32 v[86:87], v[40:41], v[120:121]
	v_fmac_f64_e32 v[100:101], v[42:43], v[124:125]
	global_load_dwordx4 v[120:123], v103, s[4:5] offset:80
	global_load_dwordx4 v[124:127], v103, s[4:5] offset:64
	s_waitcnt vmcnt(5)
	v_mul_f64 v[52:53], v[48:49], v[130:131]
	v_mul_f64 v[38:39], v[22:23], v[130:131]
	v_fmac_f64_e32 v[52:53], v[22:23], v[128:129]
	v_fma_f64 v[54:55], v[48:49], v[128:129], -v[38:39]
	s_waitcnt vmcnt(4)
	v_mul_f64 v[22:23], v[50:51], v[134:135]
	v_mul_f64 v[38:39], v[24:25], v[134:135]
	v_fmac_f64_e32 v[22:23], v[24:25], v[132:133]
	global_load_dwordx4 v[128:131], v103, s[4:5] offset:112
	v_fma_f64 v[38:39], v[50:51], v[132:133], -v[38:39]
	global_load_dwordx4 v[132:135], v103, s[4:5] offset:96
	s_waitcnt vmcnt(5)
	v_mul_f64 v[40:41], v[44:45], v[138:139]
	v_mul_f64 v[24:25], v[18:19], v[138:139]
	v_fmac_f64_e32 v[40:41], v[18:19], v[136:137]
	v_fma_f64 v[44:45], v[44:45], v[136:137], -v[24:25]
	global_load_dwordx4 v[136:139], v103, s[4:5] offset:128
	s_waitcnt vmcnt(5)
	v_mul_f64 v[24:25], v[46:47], v[118:119]
	v_mul_f64 v[18:19], v[20:21], v[118:119]
	v_fmac_f64_e32 v[24:25], v[20:21], v[116:117]
	v_fma_f64 v[20:21], v[46:47], v[116:117], -v[18:19]
	global_load_dwordx4 v[116:119], v103, s[4:5] offset:144
	s_barrier
	s_waitcnt vmcnt(5)
	v_mul_f64 v[46:47], v[36:37], v[122:123]
	s_waitcnt vmcnt(4)
	v_mul_f64 v[42:43], v[34:35], v[126:127]
	v_mul_f64 v[18:19], v[14:15], v[126:127]
	v_fmac_f64_e32 v[42:43], v[14:15], v[124:125]
	v_mul_f64 v[14:15], v[16:17], v[122:123]
	v_fmac_f64_e32 v[46:47], v[16:17], v[120:121]
	v_fma_f64 v[36:37], v[36:37], v[120:121], -v[14:15]
	v_fma_f64 v[34:35], v[34:35], v[124:125], -v[18:19]
	s_waitcnt vmcnt(3)
	v_mul_f64 v[50:51], v[32:33], v[130:131]
	v_fmac_f64_e32 v[50:51], v[12:13], v[128:129]
	s_waitcnt vmcnt(2)
	v_mul_f64 v[48:49], v[30:31], v[134:135]
	v_fmac_f64_e32 v[48:49], v[10:11], v[132:133]
	v_mul_f64 v[10:11], v[10:11], v[134:135]
	v_fma_f64 v[30:31], v[30:31], v[132:133], -v[10:11]
	v_mul_f64 v[10:11], v[12:13], v[130:131]
	s_waitcnt vmcnt(1)
	v_mul_f64 v[60:61], v[26:27], v[138:139]
	v_fmac_f64_e32 v[60:61], v[6:7], v[136:137]
	v_mul_f64 v[6:7], v[6:7], v[138:139]
	v_fma_f64 v[32:33], v[32:33], v[128:129], -v[10:11]
	v_fma_f64 v[26:27], v[26:27], v[136:137], -v[6:7]
	v_add_f64 v[10:11], v[76:77], -v[62:63]
	v_mul_f64 v[12:13], v[10:11], s[2:3]
	v_mul_f64 v[16:17], v[10:11], s[6:7]
	;; [unrolled: 1-line block ×3, first 2 shown]
	s_waitcnt vmcnt(0)
	v_mul_f64 v[102:103], v[28:29], v[118:119]
	v_mul_f64 v[6:7], v[8:9], v[118:119]
	v_fmac_f64_e32 v[102:103], v[8:9], v[116:117]
	v_fma_f64 v[28:29], v[28:29], v[116:117], -v[6:7]
	v_add_f64 v[8:9], v[74:75], v[100:101]
	v_mul_f64 v[116:117], v[10:11], s[12:13]
	v_mul_f64 v[10:11], v[10:11], s[22:23]
	v_fma_f64 v[14:15], s[10:11], v[8:9], v[12:13]
	v_fma_f64 v[12:13], v[8:9], s[10:11], -v[12:13]
	v_fma_f64 v[18:19], s[14:15], v[8:9], v[16:17]
	v_fma_f64 v[16:17], v[8:9], s[14:15], -v[16:17]
	;; [unrolled: 2-line block ×5, first 2 shown]
	v_add_f64 v[6:7], v[96:97], v[74:75]
	v_add_f64 v[14:15], v[96:97], v[14:15]
	;; [unrolled: 1-line block ×11, first 2 shown]
	v_add_f64 v[96:97], v[90:91], -v[98:99]
	v_add_f64 v[10:11], v[92:93], v[86:87]
	v_mul_f64 v[126:127], v[96:97], s[6:7]
	v_fma_f64 v[128:129], s[14:15], v[10:11], v[126:127]
	v_fma_f64 v[126:127], v[10:11], s[14:15], -v[126:127]
	v_add_f64 v[12:13], v[126:127], v[12:13]
	v_mul_f64 v[126:127], v[96:97], s[18:19]
	v_add_f64 v[14:15], v[128:129], v[14:15]
	v_fma_f64 v[128:129], s[20:21], v[10:11], v[126:127]
	v_fma_f64 v[126:127], v[10:11], s[20:21], -v[126:127]
	v_add_f64 v[16:17], v[126:127], v[16:17]
	v_mul_f64 v[126:127], v[96:97], s[28:29]
	v_add_f64 v[18:19], v[128:129], v[18:19]
	v_fma_f64 v[128:129], s[24:25], v[10:11], v[126:127]
	v_fma_f64 v[126:127], v[10:11], s[24:25], -v[126:127]
	v_add_f64 v[116:117], v[126:127], v[116:117]
	v_mul_f64 v[126:127], v[96:97], s[26:27]
	v_add_f64 v[118:119], v[128:129], v[118:119]
	v_fma_f64 v[128:129], s[16:17], v[10:11], v[126:127]
	v_fma_f64 v[126:127], v[10:11], s[16:17], -v[126:127]
	v_mul_f64 v[96:97], v[96:97], s[30:31]
	v_add_f64 v[120:121], v[126:127], v[120:121]
	v_fma_f64 v[126:127], s[10:11], v[10:11], v[96:97]
	v_fma_f64 v[10:11], v[10:11], s[10:11], -v[96:97]
	v_add_f64 v[96:97], v[84:85], -v[72:73]
	v_add_f64 v[124:125], v[126:127], v[124:125]
	v_add_f64 v[8:9], v[10:11], v[8:9]
	v_add_f64 v[10:11], v[88:89], v[82:83]
	v_mul_f64 v[126:127], v[96:97], s[12:13]
	v_add_f64 v[122:123], v[128:129], v[122:123]
	v_fma_f64 v[128:129], s[16:17], v[10:11], v[126:127]
	v_fma_f64 v[126:127], v[10:11], s[16:17], -v[126:127]
	v_add_f64 v[12:13], v[126:127], v[12:13]
	v_mul_f64 v[126:127], v[96:97], s[28:29]
	v_add_f64 v[14:15], v[128:129], v[14:15]
	v_fma_f64 v[128:129], s[24:25], v[10:11], v[126:127]
	v_fma_f64 v[126:127], v[10:11], s[24:25], -v[126:127]
	v_add_f64 v[16:17], v[126:127], v[16:17]
	v_mul_f64 v[126:127], v[96:97], s[34:35]
	v_add_f64 v[18:19], v[128:129], v[18:19]
	v_fma_f64 v[128:129], s[14:15], v[10:11], v[126:127]
	v_fma_f64 v[126:127], v[10:11], s[14:15], -v[126:127]
	v_add_f64 v[116:117], v[126:127], v[116:117]
	v_mul_f64 v[126:127], v[96:97], s[2:3]
	v_add_f64 v[118:119], v[128:129], v[118:119]
	v_fma_f64 v[128:129], s[10:11], v[10:11], v[126:127]
	v_fma_f64 v[126:127], v[10:11], s[10:11], -v[126:127]
	v_mul_f64 v[96:97], v[96:97], s[18:19]
	v_add_f64 v[120:121], v[126:127], v[120:121]
	v_fma_f64 v[126:127], s[20:21], v[10:11], v[96:97]
	v_fma_f64 v[10:11], v[10:11], s[20:21], -v[96:97]
	v_add_f64 v[96:97], v[78:79], -v[70:71]
	v_add_f64 v[124:125], v[126:127], v[124:125]
	v_add_f64 v[8:9], v[10:11], v[8:9]
	v_add_f64 v[10:11], v[64:65], v[80:81]
	v_mul_f64 v[126:127], v[96:97], s[18:19]
	v_add_f64 v[122:123], v[128:129], v[122:123]
	;; [unrolled: 27-line block ×3, first 2 shown]
	v_fma_f64 v[128:129], s[24:25], v[10:11], v[126:127]
	v_fma_f64 v[126:127], v[10:11], s[24:25], -v[126:127]
	v_add_f64 v[12:13], v[126:127], v[12:13]
	v_mul_f64 v[126:127], v[96:97], s[30:31]
	v_add_f64 v[14:15], v[128:129], v[14:15]
	v_fma_f64 v[128:129], s[10:11], v[10:11], v[126:127]
	v_fma_f64 v[126:127], v[10:11], s[10:11], -v[126:127]
	v_add_f64 v[16:17], v[126:127], v[16:17]
	v_mul_f64 v[126:127], v[96:97], s[18:19]
	v_add_f64 v[6:7], v[6:7], v[92:93]
	v_add_f64 v[18:19], v[128:129], v[18:19]
	v_fma_f64 v[128:129], s[20:21], v[10:11], v[126:127]
	v_fma_f64 v[126:127], v[10:11], s[20:21], -v[126:127]
	v_add_f64 v[6:7], v[6:7], v[88:89]
	v_add_f64 v[116:117], v[126:127], v[116:117]
	v_mul_f64 v[126:127], v[96:97], s[34:35]
	v_add_f64 v[6:7], v[6:7], v[64:65]
	v_add_f64 v[118:119], v[128:129], v[118:119]
	v_fma_f64 v[128:129], s[14:15], v[10:11], v[126:127]
	v_fma_f64 v[126:127], v[10:11], s[14:15], -v[126:127]
	v_mul_f64 v[96:97], v[96:97], s[12:13]
	v_add_f64 v[6:7], v[6:7], v[66:67]
	v_add_f64 v[120:121], v[126:127], v[120:121]
	v_fma_f64 v[126:127], s[16:17], v[10:11], v[96:97]
	v_fma_f64 v[10:11], v[10:11], s[16:17], -v[96:97]
	v_add_f64 v[6:7], v[6:7], v[68:69]
	v_add_f64 v[8:9], v[10:11], v[8:9]
	v_lshrrev_b32_e32 v10, 1, v104
	v_add_f64 v[6:7], v[6:7], v[80:81]
	v_mul_u32_u24_e32 v10, 22, v10
	v_add_f64 v[6:7], v[6:7], v[82:83]
	v_or_b32_e32 v10, v10, v114
	v_add_f64 v[6:7], v[6:7], v[86:87]
	v_lshlrev_b32_e32 v10, 3, v10
	v_add_f64 v[6:7], v[6:7], v[100:101]
	v_add3_u32 v97, 0, v10, v108
	v_lshrrev_b32_e32 v96, 1, v105
	v_add_f64 v[122:123], v[128:129], v[122:123]
	v_add_f64 v[124:125], v[126:127], v[124:125]
	ds_write2_b64 v97, v[6:7], v[14:15] offset1:2
	ds_write2_b64 v97, v[18:19], v[118:119] offset0:4 offset1:6
	ds_write2_b64 v97, v[122:123], v[124:125] offset0:8 offset1:10
	;; [unrolled: 1-line block ×4, first 2 shown]
	ds_write_b64 v97, v[12:13] offset:160
	s_and_saveexec_b64 s[36:37], s[0:1]
	s_cbranch_execz .LBB0_18
; %bb.17:
	v_add_f64 v[134:135], v[54:55], -v[28:29]
	v_add_f64 v[126:127], v[38:39], -v[26:27]
	v_add_f64 v[132:133], v[52:53], v[102:103]
	v_mul_f64 v[136:137], v[134:135], s[22:23]
	v_add_f64 v[118:119], v[44:45], -v[32:33]
	v_add_f64 v[124:125], v[22:23], v[60:61]
	v_mul_f64 v[128:129], v[126:127], s[30:31]
	v_fma_f64 v[138:139], v[132:133], s[24:25], -v[136:137]
	v_add_f64 v[16:17], v[20:21], -v[30:31]
	v_add_f64 v[116:117], v[40:41], v[50:51]
	v_mul_f64 v[120:121], v[118:119], s[18:19]
	v_fma_f64 v[130:131], v[124:125], s[10:11], -v[128:129]
	v_add_f64 v[138:139], v[4:5], v[138:139]
	v_add_f64 v[8:9], v[34:35], -v[36:37]
	v_add_f64 v[14:15], v[24:25], v[48:49]
	v_mul_f64 v[18:19], v[16:17], s[34:35]
	v_fma_f64 v[122:123], v[116:117], s[20:21], -v[120:121]
	v_add_f64 v[130:131], v[130:131], v[138:139]
	v_add_f64 v[6:7], v[42:43], v[46:47]
	v_mul_f64 v[10:11], v[8:9], s[12:13]
	v_fma_f64 v[114:115], v[14:15], s[14:15], -v[18:19]
	v_add_f64 v[122:123], v[122:123], v[130:131]
	v_fma_f64 v[12:13], v[6:7], s[16:17], -v[10:11]
	v_add_f64 v[114:115], v[114:115], v[122:123]
	v_fmac_f64_e32 v[136:137], s[24:25], v[132:133]
	v_add_f64 v[12:13], v[12:13], v[114:115]
	v_fmac_f64_e32 v[128:129], s[10:11], v[124:125]
	v_add_f64 v[114:115], v[4:5], v[136:137]
	v_mul_f64 v[140:141], v[134:135], s[18:19]
	v_fmac_f64_e32 v[120:121], s[20:21], v[116:117]
	v_add_f64 v[114:115], v[128:129], v[114:115]
	v_mul_f64 v[136:137], v[126:127], s[26:27]
	v_fma_f64 v[142:143], v[132:133], s[20:21], -v[140:141]
	v_fmac_f64_e32 v[18:19], s[14:15], v[14:15]
	v_add_f64 v[114:115], v[120:121], v[114:115]
	v_mul_f64 v[128:129], v[118:119], s[2:3]
	v_fma_f64 v[138:139], v[124:125], s[16:17], -v[136:137]
	v_add_f64 v[142:143], v[4:5], v[142:143]
	v_fmac_f64_e32 v[10:11], s[16:17], v[6:7]
	v_add_f64 v[18:19], v[18:19], v[114:115]
	v_mul_f64 v[120:121], v[16:17], s[22:23]
	v_fma_f64 v[130:131], v[116:117], s[10:11], -v[128:129]
	v_add_f64 v[138:139], v[138:139], v[142:143]
	v_add_f64 v[10:11], v[10:11], v[18:19]
	v_mul_f64 v[18:19], v[8:9], s[34:35]
	v_fma_f64 v[122:123], v[14:15], s[24:25], -v[120:121]
	v_add_f64 v[130:131], v[130:131], v[138:139]
	v_fma_f64 v[114:115], v[6:7], s[14:15], -v[18:19]
	v_add_f64 v[122:123], v[122:123], v[130:131]
	v_fmac_f64_e32 v[140:141], s[20:21], v[132:133]
	v_add_f64 v[114:115], v[114:115], v[122:123]
	v_fmac_f64_e32 v[136:137], s[16:17], v[124:125]
	v_add_f64 v[122:123], v[4:5], v[140:141]
	v_mul_f64 v[144:145], v[134:135], s[12:13]
	v_fmac_f64_e32 v[128:129], s[10:11], v[116:117]
	v_add_f64 v[122:123], v[136:137], v[122:123]
	v_mul_f64 v[140:141], v[126:127], s[28:29]
	v_fma_f64 v[146:147], v[132:133], s[16:17], -v[144:145]
	v_fmac_f64_e32 v[120:121], s[24:25], v[14:15]
	v_add_f64 v[122:123], v[128:129], v[122:123]
	v_mul_f64 v[136:137], v[118:119], s[34:35]
	v_fma_f64 v[142:143], v[124:125], s[24:25], -v[140:141]
	v_add_f64 v[146:147], v[4:5], v[146:147]
	v_fmac_f64_e32 v[18:19], s[14:15], v[6:7]
	;; [unrolled: 25-line block ×3, first 2 shown]
	v_add_f64 v[128:129], v[128:129], v[130:131]
	v_mul_f64 v[136:137], v[16:17], s[26:27]
	v_fma_f64 v[142:143], v[116:117], s[24:25], -v[140:141]
	v_add_f64 v[146:147], v[146:147], v[150:151]
	v_add_f64 v[120:121], v[120:121], v[128:129]
	v_mul_f64 v[128:129], v[8:9], s[30:31]
	v_fma_f64 v[138:139], v[14:15], s[16:17], -v[136:137]
	v_add_f64 v[142:143], v[142:143], v[146:147]
	v_fma_f64 v[130:131], v[6:7], s[10:11], -v[128:129]
	v_add_f64 v[138:139], v[138:139], v[142:143]
	v_fmac_f64_e32 v[148:149], s[14:15], v[132:133]
	v_add_f64 v[130:131], v[130:131], v[138:139]
	v_fmac_f64_e32 v[144:145], s[20:21], v[124:125]
	;; [unrolled: 2-line block ×4, first 2 shown]
	v_add_f64 v[138:139], v[140:141], v[138:139]
	v_mul_f64 v[134:135], v[134:135], s[2:3]
	v_fmac_f64_e32 v[128:129], s[10:11], v[6:7]
	v_add_f64 v[136:137], v[136:137], v[138:139]
	v_mul_f64 v[8:9], v[8:9], s[22:23]
	v_fma_f64 v[144:145], v[132:133], s[10:11], -v[134:135]
	v_fmac_f64_e32 v[134:135], s[10:11], v[132:133]
	v_add_f64 v[128:129], v[128:129], v[136:137]
	v_fma_f64 v[136:137], v[6:7], s[24:25], -v[8:9]
	v_add_f64 v[144:145], v[4:5], v[144:145]
	v_fmac_f64_e32 v[8:9], s[24:25], v[6:7]
	v_add_f64 v[6:7], v[4:5], v[134:135]
	v_add_f64 v[4:5], v[4:5], v[52:53]
	v_mul_f64 v[126:127], v[126:127], s[6:7]
	v_add_f64 v[4:5], v[4:5], v[22:23]
	v_mul_f64 v[118:119], v[118:119], s[12:13]
	v_fma_f64 v[142:143], v[124:125], s[14:15], -v[126:127]
	v_fmac_f64_e32 v[126:127], s[14:15], v[124:125]
	v_add_f64 v[4:5], v[4:5], v[40:41]
	v_mul_f64 v[16:17], v[16:17], s[18:19]
	v_fma_f64 v[140:141], v[116:117], s[16:17], -v[118:119]
	v_fmac_f64_e32 v[118:119], s[16:17], v[116:117]
	v_add_f64 v[6:7], v[126:127], v[6:7]
	v_add_f64 v[4:5], v[4:5], v[24:25]
	v_fma_f64 v[138:139], v[14:15], s[20:21], -v[16:17]
	v_fmac_f64_e32 v[16:17], s[20:21], v[14:15]
	v_add_f64 v[6:7], v[118:119], v[6:7]
	v_add_f64 v[4:5], v[4:5], v[42:43]
	v_add_f64 v[6:7], v[16:17], v[6:7]
	v_add_f64 v[4:5], v[4:5], v[46:47]
	v_add_f64 v[6:7], v[8:9], v[6:7]
	v_add_f64 v[4:5], v[4:5], v[48:49]
	v_mul_lo_u32 v8, v96, 22
	v_add_f64 v[142:143], v[142:143], v[144:145]
	v_add_f64 v[4:5], v[4:5], v[50:51]
	v_or_b32_e32 v8, v8, v113
	v_add_f64 v[140:141], v[140:141], v[142:143]
	v_add_f64 v[4:5], v[4:5], v[60:61]
	v_lshlrev_b32_e32 v8, 3, v8
	v_add_f64 v[138:139], v[138:139], v[140:141]
	v_add_f64 v[4:5], v[4:5], v[102:103]
	v_add3_u32 v8, 0, v8, v108
	v_add_f64 v[136:137], v[136:137], v[138:139]
	ds_write2_b64 v8, v[4:5], v[6:7] offset1:2
	ds_write2_b64 v8, v[128:129], v[120:121] offset0:4 offset1:6
	ds_write2_b64 v8, v[18:19], v[10:11] offset0:8 offset1:10
	ds_write2_b64 v8, v[12:13], v[114:115] offset0:12 offset1:14
	ds_write2_b64 v8, v[122:123], v[130:131] offset0:16 offset1:18
	ds_write_b64 v8, v[136:137] offset:160
.LBB0_18:
	s_or_b64 exec, exec, s[36:37]
	v_add_f64 v[4:5], v[0:1], v[76:77]
	v_add_f64 v[4:5], v[4:5], v[90:91]
	;; [unrolled: 1-line block ×11, first 2 shown]
	v_add_f64 v[6:7], v[74:75], -v[100:101]
	v_mul_f64 v[8:9], v[4:5], s[10:11]
	v_mul_f64 v[12:13], v[4:5], s[14:15]
	;; [unrolled: 1-line block ×4, first 2 shown]
	s_mov_b32 s37, 0x3fe82f19
	s_mov_b32 s36, s18
	v_mul_f64 v[4:5], v[4:5], s[24:25]
	v_fma_f64 v[10:11], s[30:31], v[6:7], v[8:9]
	v_fmac_f64_e32 v[8:9], s[2:3], v[6:7]
	v_fma_f64 v[14:15], s[34:35], v[6:7], v[12:13]
	v_fmac_f64_e32 v[12:13], s[6:7], v[6:7]
	;; [unrolled: 2-line block ×5, first 2 shown]
	v_add_f64 v[10:11], v[0:1], v[10:11]
	v_add_f64 v[8:9], v[0:1], v[8:9]
	;; [unrolled: 1-line block ×11, first 2 shown]
	v_add_f64 v[6:7], v[92:93], -v[86:87]
	v_mul_f64 v[86:87], v[4:5], s[14:15]
	v_fma_f64 v[90:91], s[34:35], v[6:7], v[86:87]
	v_fmac_f64_e32 v[86:87], s[6:7], v[6:7]
	v_add_f64 v[8:9], v[86:87], v[8:9]
	v_mul_f64 v[86:87], v[4:5], s[20:21]
	v_add_f64 v[10:11], v[90:91], v[10:11]
	v_fma_f64 v[90:91], s[36:37], v[6:7], v[86:87]
	v_fmac_f64_e32 v[86:87], s[18:19], v[6:7]
	v_add_f64 v[12:13], v[86:87], v[12:13]
	v_mul_f64 v[86:87], v[4:5], s[24:25]
	v_add_f64 v[14:15], v[90:91], v[14:15]
	v_fma_f64 v[90:91], s[22:23], v[6:7], v[86:87]
	v_fmac_f64_e32 v[86:87], s[28:29], v[6:7]
	v_add_f64 v[16:17], v[86:87], v[16:17]
	v_mul_f64 v[86:87], v[4:5], s[16:17]
	v_add_f64 v[18:19], v[90:91], v[18:19]
	v_fma_f64 v[90:91], s[12:13], v[6:7], v[86:87]
	v_fmac_f64_e32 v[86:87], s[26:27], v[6:7]
	v_mul_f64 v[4:5], v[4:5], s[10:11]
	v_add_f64 v[62:63], v[86:87], v[62:63]
	v_fma_f64 v[86:87], s[2:3], v[6:7], v[4:5]
	v_fmac_f64_e32 v[4:5], s[30:31], v[6:7]
	v_add_f64 v[0:1], v[4:5], v[0:1]
	v_add_f64 v[4:5], v[84:85], v[72:73]
	v_add_f64 v[6:7], v[88:89], -v[82:83]
	v_mul_f64 v[72:73], v[4:5], s[16:17]
	v_fma_f64 v[82:83], s[26:27], v[6:7], v[72:73]
	v_fmac_f64_e32 v[72:73], s[12:13], v[6:7]
	v_add_f64 v[8:9], v[72:73], v[8:9]
	v_mul_f64 v[72:73], v[4:5], s[24:25]
	v_add_f64 v[10:11], v[82:83], v[10:11]
	v_fma_f64 v[82:83], s[22:23], v[6:7], v[72:73]
	v_fmac_f64_e32 v[72:73], s[28:29], v[6:7]
	v_add_f64 v[12:13], v[72:73], v[12:13]
	v_mul_f64 v[72:73], v[4:5], s[14:15]
	v_add_f64 v[14:15], v[82:83], v[14:15]
	v_fma_f64 v[82:83], s[6:7], v[6:7], v[72:73]
	v_fmac_f64_e32 v[72:73], s[34:35], v[6:7]
	v_add_f64 v[16:17], v[72:73], v[16:17]
	v_mul_f64 v[72:73], v[4:5], s[10:11]
	v_add_f64 v[18:19], v[82:83], v[18:19]
	v_fma_f64 v[82:83], s[30:31], v[6:7], v[72:73]
	v_fmac_f64_e32 v[72:73], s[2:3], v[6:7]
	v_mul_f64 v[4:5], v[4:5], s[20:21]
	v_add_f64 v[62:63], v[72:73], v[62:63]
	v_fma_f64 v[72:73], s[36:37], v[6:7], v[4:5]
	v_fmac_f64_e32 v[4:5], s[18:19], v[6:7]
	v_add_f64 v[0:1], v[4:5], v[0:1]
	v_add_f64 v[4:5], v[78:79], v[70:71]
	;; [unrolled: 25-line block ×3, first 2 shown]
	v_add_f64 v[6:7], v[66:67], -v[68:69]
	v_mul_f64 v[56:57], v[4:5], s[24:25]
	v_fma_f64 v[58:59], s[28:29], v[6:7], v[56:57]
	v_fmac_f64_e32 v[56:57], s[22:23], v[6:7]
	v_add_f64 v[76:77], v[86:87], v[76:77]
	v_add_f64 v[78:79], v[56:57], v[8:9]
	v_mul_f64 v[8:9], v[4:5], s[10:11]
	v_add_f64 v[74:75], v[90:91], v[74:75]
	v_add_f64 v[72:73], v[72:73], v[76:77]
	;; [unrolled: 1-line block ×3, first 2 shown]
	v_fma_f64 v[10:11], s[2:3], v[6:7], v[8:9]
	v_fmac_f64_e32 v[8:9], s[30:31], v[6:7]
	v_add_f64 v[74:75], v[82:83], v[74:75]
	v_add_f64 v[82:83], v[8:9], v[12:13]
	v_mul_f64 v[8:9], v[4:5], s[20:21]
	v_add_f64 v[80:81], v[10:11], v[14:15]
	v_fma_f64 v[10:11], s[36:37], v[6:7], v[8:9]
	v_fmac_f64_e32 v[8:9], s[18:19], v[6:7]
	v_add_f64 v[86:87], v[8:9], v[16:17]
	v_mul_f64 v[8:9], v[4:5], s[14:15]
	v_add_f64 v[84:85], v[10:11], v[18:19]
	v_fma_f64 v[10:11], s[6:7], v[6:7], v[8:9]
	v_fmac_f64_e32 v[8:9], s[34:35], v[6:7]
	v_mul_f64 v[4:5], v[4:5], s[16:17]
	v_add_f64 v[90:91], v[8:9], v[62:63]
	v_fma_f64 v[8:9], s[26:27], v[6:7], v[4:5]
	v_fmac_f64_e32 v[4:5], s[12:13], v[6:7]
	v_add_f64 v[98:99], v[4:5], v[0:1]
	v_lshlrev_b32_e32 v0, 3, v109
	v_add3_u32 v68, 0, v0, v108
	v_lshlrev_b32_e32 v0, 3, v110
	v_add_f64 v[70:71], v[70:71], v[74:75]
	v_add3_u32 v69, 0, v0, v108
	v_lshlrev_b32_e32 v0, 3, v111
	v_add_f64 v[64:65], v[64:65], v[72:73]
	v_add_f64 v[88:89], v[10:11], v[70:71]
	v_add3_u32 v70, 0, v0, v108
	v_add_u32_e32 v72, 0x1000, v107
	v_add_u32_e32 v73, 0x1400, v107
	;; [unrolled: 1-line block ×4, first 2 shown]
	v_add_f64 v[92:93], v[8:9], v[64:65]
	s_waitcnt lgkmcnt(0)
	s_barrier
	ds_read_b64 v[56:57], v106
	ds_read_b64 v[62:63], v69
	ds_read2_b64 v[4:7], v72 offset0:27 offset1:104
	ds_read2_b64 v[8:11], v73 offset0:53 offset1:130
	;; [unrolled: 1-line block ×3, first 2 shown]
	v_add3_u32 v71, 0, v112, v108
	ds_read_b64 v[64:65], v70
	ds_read_b64 v[0:1], v71
	ds_read2_b64 v[16:19], v75 offset0:39 offset1:193
	ds_read_b64 v[66:67], v68
	ds_read_b64 v[58:59], v107 offset:8008
	s_waitcnt lgkmcnt(0)
	s_barrier
	ds_write2_b64 v97, v[114:115], v[76:77] offset1:2
	ds_write2_b64 v97, v[80:81], v[84:85] offset0:4 offset1:6
	ds_write2_b64 v97, v[88:89], v[92:93] offset0:8 offset1:10
	;; [unrolled: 1-line block ×4, first 2 shown]
	ds_write_b64 v97, v[78:79] offset:160
	s_and_saveexec_b64 s[2:3], s[0:1]
	s_cbranch_execz .LBB0_20
; %bb.19:
	v_add_f64 v[76:77], v[2:3], v[54:55]
	v_add_f64 v[76:77], v[76:77], v[38:39]
	;; [unrolled: 1-line block ×9, first 2 shown]
	s_mov_b32 s0, 0x8764f0ba
	s_mov_b32 s10, 0xd9c712b6
	;; [unrolled: 1-line block ×5, first 2 shown]
	v_add_f64 v[76:77], v[76:77], v[28:29]
	v_add_f64 v[28:29], v[54:55], v[28:29]
	s_mov_b32 s1, 0x3feaeb8c
	s_mov_b32 s6, 0xf8bb580b
	;; [unrolled: 1-line block ×10, first 2 shown]
	v_add_f64 v[52:53], v[52:53], -v[102:103]
	v_mul_f64 v[54:55], v[28:29], s[0:1]
	s_mov_b32 s7, 0x3fe14ced
	s_mov_b32 s15, 0xbfe14ced
	s_mov_b32 s14, s6
	v_mul_f64 v[80:81], v[28:29], s[10:11]
	s_mov_b32 s13, 0x3fed1bb4
	s_mov_b32 s17, 0xbfed1bb4
	s_mov_b32 s16, s12
	;; [unrolled: 4-line block ×3, first 2 shown]
	v_mul_f64 v[88:89], v[28:29], s[24:25]
	s_mov_b32 s27, 0xbfe82f19
	s_mov_b32 s26, s36
	v_mul_f64 v[28:29], v[28:29], s[28:29]
	s_mov_b32 s31, 0x3fd207e7
	s_mov_b32 s35, 0xbfd207e7
	;; [unrolled: 1-line block ×3, first 2 shown]
	v_fma_f64 v[78:79], s[6:7], v[52:53], v[54:55]
	v_fmac_f64_e32 v[54:55], s[14:15], v[52:53]
	v_fma_f64 v[82:83], s[12:13], v[52:53], v[80:81]
	v_fmac_f64_e32 v[80:81], s[16:17], v[52:53]
	v_fma_f64 v[86:87], s[20:21], v[52:53], v[84:85]
	v_fmac_f64_e32 v[84:85], s[22:23], v[52:53]
	v_fma_f64 v[90:91], s[36:37], v[52:53], v[88:89]
	v_fmac_f64_e32 v[88:89], s[26:27], v[52:53]
	v_fma_f64 v[92:93], s[30:31], v[52:53], v[28:29]
	v_fmac_f64_e32 v[28:29], s[34:35], v[52:53]
	v_add_f64 v[26:27], v[38:39], v[26:27]
	v_add_f64 v[78:79], v[2:3], v[78:79]
	v_add_f64 v[54:55], v[2:3], v[54:55]
	v_add_f64 v[82:83], v[2:3], v[82:83]
	v_add_f64 v[80:81], v[2:3], v[80:81]
	v_add_f64 v[86:87], v[2:3], v[86:87]
	v_add_f64 v[84:85], v[2:3], v[84:85]
	v_add_f64 v[90:91], v[2:3], v[90:91]
	v_add_f64 v[88:89], v[2:3], v[88:89]
	v_add_f64 v[92:93], v[2:3], v[92:93]
	v_add_f64 v[2:3], v[2:3], v[28:29]
	v_add_f64 v[22:23], v[22:23], -v[60:61]
	v_mul_f64 v[28:29], v[26:27], s[10:11]
	v_fma_f64 v[38:39], s[12:13], v[22:23], v[28:29]
	v_fmac_f64_e32 v[28:29], s[16:17], v[22:23]
	v_mul_f64 v[52:53], v[26:27], s[24:25]
	v_add_f64 v[28:29], v[28:29], v[54:55]
	v_fma_f64 v[54:55], s[36:37], v[22:23], v[52:53]
	v_fmac_f64_e32 v[52:53], s[26:27], v[22:23]
	v_mul_f64 v[60:61], v[26:27], s[28:29]
	v_add_f64 v[38:39], v[38:39], v[78:79]
	v_add_f64 v[52:53], v[52:53], v[80:81]
	v_fma_f64 v[78:79], s[34:35], v[22:23], v[60:61]
	v_fmac_f64_e32 v[60:61], s[30:31], v[22:23]
	v_mul_f64 v[80:81], v[26:27], s[18:19]
	v_mul_f64 v[26:27], v[26:27], s[0:1]
	v_add_f64 v[54:55], v[54:55], v[82:83]
	v_add_f64 v[60:61], v[60:61], v[84:85]
	v_fma_f64 v[82:83], s[22:23], v[22:23], v[80:81]
	v_fmac_f64_e32 v[80:81], s[20:21], v[22:23]
	v_fma_f64 v[84:85], s[14:15], v[22:23], v[26:27]
	v_fmac_f64_e32 v[26:27], s[6:7], v[22:23]
	v_add_f64 v[22:23], v[44:45], v[32:33]
	v_add_f64 v[2:3], v[26:27], v[2:3]
	v_add_f64 v[26:27], v[40:41], -v[50:51]
	v_mul_f64 v[32:33], v[22:23], s[18:19]
	v_fma_f64 v[40:41], s[20:21], v[26:27], v[32:33]
	v_fmac_f64_e32 v[32:33], s[22:23], v[26:27]
	v_add_f64 v[28:29], v[32:33], v[28:29]
	v_mul_f64 v[32:33], v[22:23], s[28:29]
	v_add_f64 v[38:39], v[40:41], v[38:39]
	v_fma_f64 v[40:41], s[34:35], v[26:27], v[32:33]
	v_fmac_f64_e32 v[32:33], s[30:31], v[26:27]
	v_mul_f64 v[44:45], v[22:23], s[10:11]
	v_add_f64 v[32:33], v[32:33], v[52:53]
	v_fma_f64 v[50:51], s[16:17], v[26:27], v[44:45]
	v_fmac_f64_e32 v[44:45], s[12:13], v[26:27]
	v_mul_f64 v[52:53], v[22:23], s[0:1]
	v_mul_f64 v[22:23], v[22:23], s[24:25]
	v_add_f64 v[44:45], v[44:45], v[60:61]
	v_fma_f64 v[60:61], s[36:37], v[26:27], v[22:23]
	v_fmac_f64_e32 v[22:23], s[26:27], v[26:27]
	v_add_f64 v[20:21], v[20:21], v[30:31]
	v_add_f64 v[2:3], v[22:23], v[2:3]
	v_add_f64 v[22:23], v[24:25], -v[48:49]
	v_mul_f64 v[24:25], v[20:21], s[24:25]
	v_add_f64 v[40:41], v[40:41], v[54:55]
	v_fma_f64 v[54:55], s[6:7], v[26:27], v[52:53]
	v_fmac_f64_e32 v[52:53], s[14:15], v[26:27]
	v_fma_f64 v[26:27], s[36:37], v[22:23], v[24:25]
	v_fmac_f64_e32 v[24:25], s[26:27], v[22:23]
	v_add_f64 v[24:25], v[24:25], v[28:29]
	v_mul_f64 v[28:29], v[20:21], s[18:19]
	v_fma_f64 v[30:31], s[22:23], v[22:23], v[28:29]
	v_fmac_f64_e32 v[28:29], s[20:21], v[22:23]
	v_add_f64 v[30:31], v[30:31], v[40:41]
	v_add_f64 v[28:29], v[28:29], v[32:33]
	v_mul_f64 v[32:33], v[20:21], s[0:1]
	v_mul_f64 v[40:41], v[20:21], s[28:29]
	;; [unrolled: 1-line block ×3, first 2 shown]
	v_fma_f64 v[48:49], s[16:17], v[22:23], v[20:21]
	v_fmac_f64_e32 v[20:21], s[12:13], v[22:23]
	v_add_f64 v[26:27], v[26:27], v[38:39]
	v_fma_f64 v[38:39], s[6:7], v[22:23], v[32:33]
	v_fmac_f64_e32 v[32:33], s[14:15], v[22:23]
	v_add_f64 v[2:3], v[20:21], v[2:3]
	v_add_f64 v[20:21], v[34:35], v[36:37]
	;; [unrolled: 1-line block ×3, first 2 shown]
	v_fma_f64 v[44:45], s[30:31], v[22:23], v[40:41]
	v_fmac_f64_e32 v[40:41], s[34:35], v[22:23]
	v_add_f64 v[22:23], v[42:43], -v[46:47]
	v_mul_f64 v[34:35], v[20:21], s[28:29]
	v_fma_f64 v[36:37], s[30:31], v[22:23], v[34:35]
	v_fmac_f64_e32 v[34:35], s[34:35], v[22:23]
	v_add_f64 v[24:25], v[34:35], v[24:25]
	v_mul_f64 v[34:35], v[20:21], s[0:1]
	v_add_f64 v[26:27], v[36:37], v[26:27]
	v_fma_f64 v[36:37], s[14:15], v[22:23], v[34:35]
	v_fmac_f64_e32 v[34:35], s[6:7], v[22:23]
	v_add_f64 v[78:79], v[78:79], v[86:87]
	v_add_f64 v[28:29], v[34:35], v[28:29]
	v_mul_f64 v[34:35], v[20:21], s[24:25]
	v_add_f64 v[80:81], v[80:81], v[88:89]
	v_add_f64 v[50:51], v[50:51], v[78:79]
	;; [unrolled: 1-line block ×3, first 2 shown]
	v_fma_f64 v[36:37], s[36:37], v[22:23], v[34:35]
	v_fmac_f64_e32 v[34:35], s[26:27], v[22:23]
	v_add_f64 v[52:53], v[52:53], v[80:81]
	v_add_f64 v[38:39], v[38:39], v[50:51]
	;; [unrolled: 1-line block ×3, first 2 shown]
	v_mul_f64 v[34:35], v[20:21], s[10:11]
	v_add_f64 v[40:41], v[40:41], v[52:53]
	v_add_f64 v[36:37], v[36:37], v[38:39]
	v_fma_f64 v[38:39], s[16:17], v[22:23], v[34:35]
	v_fmac_f64_e32 v[34:35], s[12:13], v[22:23]
	v_mul_f64 v[20:21], v[20:21], s[18:19]
	v_add_f64 v[34:35], v[34:35], v[40:41]
	v_fma_f64 v[40:41], s[20:21], v[22:23], v[20:21]
	v_fmac_f64_e32 v[20:21], s[22:23], v[22:23]
	v_add_f64 v[2:3], v[20:21], v[2:3]
	v_mul_lo_u32 v20, v96, 22
	v_add_f64 v[82:83], v[82:83], v[90:91]
	v_add_f64 v[84:85], v[84:85], v[92:93]
	v_or_b32_e32 v20, v20, v113
	v_add_f64 v[54:55], v[54:55], v[82:83]
	v_add_f64 v[60:61], v[60:61], v[84:85]
	v_lshlrev_b32_e32 v20, 3, v20
	v_add_f64 v[44:45], v[44:45], v[54:55]
	v_add_f64 v[48:49], v[48:49], v[60:61]
	v_add3_u32 v20, 0, v20, v108
	v_add_f64 v[38:39], v[38:39], v[44:45]
	v_add_f64 v[40:41], v[40:41], v[48:49]
	ds_write2_b64 v20, v[76:77], v[26:27] offset1:2
	ds_write2_b64 v20, v[30:31], v[36:37] offset0:4 offset1:6
	ds_write2_b64 v20, v[38:39], v[40:41] offset0:8 offset1:10
	;; [unrolled: 1-line block ×4, first 2 shown]
	ds_write_b64 v20, v[24:25] offset:160
.LBB0_20:
	s_or_b64 exec, exec, s[2:3]
	v_lshrrev_b16_e32 v2, 1, v104
	v_and_b32_e32 v2, 0x7f, v2
	v_mul_lo_u16_e32 v2, 0xbb, v2
	v_lshrrev_b16_e32 v109, 11, v2
	v_mul_lo_u16_e32 v2, 22, v109
	v_sub_u16_e32 v142, v104, v2
	v_mov_b32_e32 v2, 6
	v_mul_u32_u24_sdwa v3, v142, v2 dst_sel:DWORD dst_unused:UNUSED_PAD src0_sel:BYTE_0 src1_sel:DWORD
	v_lshlrev_b32_e32 v3, 4, v3
	s_waitcnt lgkmcnt(0)
	s_barrier
	global_load_dwordx4 v[20:23], v3, s[4:5] offset:336
	global_load_dwordx4 v[24:27], v3, s[4:5] offset:320
	;; [unrolled: 1-line block ×6, first 2 shown]
	v_lshrrev_b16_e32 v3, 1, v105
	v_and_b32_e32 v3, 0x7f, v3
	v_mul_lo_u16_e32 v3, 0xbb, v3
	v_lshrrev_b16_e32 v143, 11, v3
	v_mul_lo_u16_e32 v3, 22, v143
	v_sub_u16_e32 v144, v105, v3
	v_mul_u32_u24_sdwa v2, v144, v2 dst_sel:DWORD dst_unused:UNUSED_PAD src0_sel:BYTE_0 src1_sel:DWORD
	v_lshlrev_b32_e32 v2, 4, v2
	global_load_dwordx4 v[44:47], v2, s[4:5] offset:320
	global_load_dwordx4 v[48:51], v2, s[4:5] offset:336
	;; [unrolled: 1-line block ×6, first 2 shown]
	ds_read_b64 v[2:3], v106
	ds_read_b64 v[60:61], v68
	;; [unrolled: 1-line block ×3, first 2 shown]
	ds_read2_b64 v[88:91], v72 offset0:27 offset1:104
	ds_read2_b64 v[96:99], v73 offset0:53 offset1:130
	ds_read2_b64 v[100:103], v74 offset0:79 offset1:156
	ds_read_b64 v[114:115], v70
	ds_read_b64 v[116:117], v71
	ds_read2_b64 v[110:113], v75 offset0:39 offset1:193
	ds_read_b64 v[118:119], v107 offset:8008
	s_mov_b32 s10, 0x37e14327
	s_mov_b32 s12, 0x36b3c0b5
	;; [unrolled: 1-line block ×20, first 2 shown]
	s_movk_i32 s24, 0x4d0
	s_waitcnt lgkmcnt(0)
	s_barrier
	s_waitcnt vmcnt(11)
	v_mul_f64 v[122:123], v[92:93], v[22:23]
	s_waitcnt vmcnt(10)
	v_mul_f64 v[120:121], v[60:61], v[26:27]
	v_mul_f64 v[26:27], v[66:67], v[26:27]
	;; [unrolled: 1-line block ×3, first 2 shown]
	s_waitcnt vmcnt(7)
	v_mul_f64 v[130:131], v[102:103], v[38:39]
	s_waitcnt vmcnt(6)
	v_mul_f64 v[128:129], v[98:99], v[42:43]
	v_mul_f64 v[42:43], v[10:11], v[42:43]
	;; [unrolled: 1-line block ×7, first 2 shown]
	v_fmac_f64_e32 v[120:121], v[66:67], v[24:25]
	v_fma_f64 v[24:25], v[60:61], v[24:25], -v[26:27]
	v_fmac_f64_e32 v[122:123], v[62:63], v[20:21]
	v_fma_f64 v[20:21], v[92:93], v[20:21], -v[22:23]
	;; [unrolled: 2-line block ×4, first 2 shown]
	s_waitcnt vmcnt(5)
	v_mul_f64 v[132:133], v[110:111], v[46:47]
	v_mul_f64 v[46:47], v[16:17], v[46:47]
	v_fmac_f64_e32 v[124:125], v[64:65], v[32:33]
	v_fma_f64 v[22:23], v[114:115], v[32:33], -v[34:35]
	v_fmac_f64_e32 v[126:127], v[6:7], v[28:29]
	v_fma_f64 v[6:7], v[90:91], v[28:29], -v[30:31]
	v_add_f64 v[30:31], v[120:121], v[130:131]
	v_add_f64 v[32:33], v[24:25], v[14:15]
	v_add_f64 v[14:15], v[24:25], -v[14:15]
	v_add_f64 v[24:25], v[122:123], v[128:129]
	v_add_f64 v[36:37], v[20:21], v[10:11]
	s_waitcnt vmcnt(4)
	v_mul_f64 v[134:135], v[112:113], v[50:51]
	v_mul_f64 v[50:51], v[18:19], v[50:51]
	s_waitcnt vmcnt(3)
	v_mul_f64 v[136:137], v[88:89], v[54:55]
	v_mul_f64 v[54:55], v[4:5], v[54:55]
	s_waitcnt vmcnt(0)
	v_mul_f64 v[26:27], v[118:119], v[86:87]
	v_fmac_f64_e32 v[132:133], v[16:17], v[44:45]
	v_fma_f64 v[16:17], v[110:111], v[44:45], -v[46:47]
	v_add_f64 v[34:35], v[120:121], -v[130:131]
	v_add_f64 v[38:39], v[122:123], -v[128:129]
	;; [unrolled: 1-line block ×3, first 2 shown]
	v_add_f64 v[20:21], v[124:125], v[126:127]
	v_add_f64 v[40:41], v[22:23], v[6:7]
	v_add_f64 v[42:43], v[126:127], -v[124:125]
	v_add_f64 v[6:7], v[6:7], -v[22:23]
	v_add_f64 v[22:23], v[24:25], v[30:31]
	v_add_f64 v[44:45], v[36:37], v[32:33]
	v_mul_f64 v[60:61], v[58:59], v[86:87]
	v_fmac_f64_e32 v[134:135], v[18:19], v[48:49]
	v_fma_f64 v[18:19], v[112:113], v[48:49], -v[50:51]
	v_fmac_f64_e32 v[136:137], v[4:5], v[52:53]
	v_fma_f64 v[4:5], v[88:89], v[52:53], -v[54:55]
	v_fmac_f64_e32 v[26:27], v[58:59], v[84:85]
	v_add_f64 v[46:47], v[24:25], -v[30:31]
	v_add_f64 v[48:49], v[36:37], -v[32:33]
	;; [unrolled: 1-line block ×6, first 2 shown]
	v_add_f64 v[50:51], v[42:43], v[38:39]
	v_add_f64 v[52:53], v[6:7], v[10:11]
	v_add_f64 v[54:55], v[42:43], -v[38:39]
	v_add_f64 v[58:59], v[6:7], -v[10:11]
	;; [unrolled: 1-line block ×4, first 2 shown]
	v_add_f64 v[20:21], v[20:21], v[22:23]
	v_add_f64 v[22:23], v[40:41], v[44:45]
	v_add_f64 v[42:43], v[34:35], -v[42:43]
	v_add_f64 v[6:7], v[14:15], -v[6:7]
	v_add_f64 v[34:35], v[50:51], v[34:35]
	v_add_f64 v[14:15], v[52:53], v[14:15]
	;; [unrolled: 1-line block ×4, first 2 shown]
	v_mul_f64 v[2:3], v[30:31], s[10:11]
	v_mul_f64 v[30:31], v[32:33], s[10:11]
	;; [unrolled: 1-line block ×10, first 2 shown]
	v_fma_f64 v[20:21], s[18:19], v[20:21], v[40:41]
	v_fma_f64 v[22:23], s[18:19], v[22:23], v[52:53]
	v_fma_f64 v[32:33], v[46:47], s[2:3], -v[32:33]
	v_fma_f64 v[44:45], v[48:49], s[2:3], -v[44:45]
	;; [unrolled: 1-line block ×3, first 2 shown]
	v_fmac_f64_e32 v[2:3], s[12:13], v[24:25]
	v_fma_f64 v[24:25], v[48:49], s[14:15], -v[30:31]
	v_fmac_f64_e32 v[30:31], s[12:13], v[36:37]
	v_fma_f64 v[36:37], v[38:39], s[0:1], -v[50:51]
	v_fmac_f64_e32 v[50:51], s[22:23], v[42:43]
	v_fma_f64 v[10:11], v[10:11], s[0:1], -v[54:55]
	v_fmac_f64_e32 v[54:55], s[22:23], v[6:7]
	v_fma_f64 v[38:39], v[42:43], s[20:21], -v[56:57]
	v_fma_f64 v[6:7], v[6:7], s[20:21], -v[58:59]
	v_mul_f64 v[138:139], v[96:97], v[78:79]
	v_mul_f64 v[78:79], v[8:9], v[78:79]
	v_fmac_f64_e32 v[140:141], v[12:13], v[80:81]
	v_fma_f64 v[12:13], v[100:101], v[80:81], -v[66:67]
	v_fma_f64 v[28:29], v[118:119], v[84:85], -v[60:61]
	v_add_f64 v[2:3], v[2:3], v[20:21]
	v_add_f64 v[30:31], v[30:31], v[22:23]
	;; [unrolled: 1-line block ×6, first 2 shown]
	v_fmac_f64_e32 v[50:51], s[16:17], v[34:35]
	v_fmac_f64_e32 v[36:37], s[16:17], v[34:35]
	;; [unrolled: 1-line block ×6, first 2 shown]
	v_fma_f64 v[8:9], v[96:97], v[76:77], -v[78:79]
	v_add_f64 v[24:25], v[30:31], -v[50:51]
	v_add_f64 v[34:35], v[6:7], v[20:21]
	v_add_f64 v[56:57], v[22:23], -v[38:39]
	v_add_f64 v[44:45], v[32:33], -v[10:11]
	v_add_f64 v[58:59], v[36:37], v[42:43]
	v_add_f64 v[10:11], v[10:11], v[32:33]
	v_add_f64 v[32:33], v[42:43], -v[36:37]
	v_add_f64 v[6:7], v[20:21], -v[6:7]
	v_add_f64 v[20:21], v[38:39], v[22:23]
	v_add_f64 v[22:23], v[50:51], v[30:31]
	;; [unrolled: 1-line block ×4, first 2 shown]
	v_add_f64 v[16:17], v[16:17], -v[28:29]
	v_add_f64 v[28:29], v[134:135], v[140:141]
	v_add_f64 v[38:39], v[18:19], v[12:13]
	v_fmac_f64_e32 v[54:55], s[16:17], v[14:15]
	v_add_f64 v[42:43], v[134:135], -v[140:141]
	v_add_f64 v[12:13], v[18:19], -v[12:13]
	v_add_f64 v[18:19], v[136:137], v[138:139]
	v_add_f64 v[46:47], v[4:5], v[8:9]
	v_add_f64 v[48:49], v[138:139], -v[136:137]
	v_add_f64 v[4:5], v[8:9], -v[4:5]
	v_add_f64 v[8:9], v[28:29], v[30:31]
	v_add_f64 v[50:51], v[38:39], v[36:37]
	;; [unrolled: 1-line block ×3, first 2 shown]
	v_add_f64 v[2:3], v[2:3], -v[54:55]
	v_add_f64 v[26:27], v[132:133], -v[26:27]
	v_add_f64 v[54:55], v[28:29], -v[30:31]
	v_add_f64 v[60:61], v[38:39], -v[36:37]
	v_add_f64 v[30:31], v[30:31], -v[18:19]
	v_add_f64 v[36:37], v[36:37], -v[46:47]
	v_add_f64 v[28:29], v[18:19], -v[28:29]
	v_add_f64 v[62:63], v[48:49], v[42:43]
	v_add_f64 v[64:65], v[4:5], v[12:13]
	v_add_f64 v[66:67], v[48:49], -v[42:43]
	v_add_f64 v[76:77], v[4:5], -v[12:13]
	;; [unrolled: 1-line block ×3, first 2 shown]
	v_add_f64 v[8:9], v[18:19], v[8:9]
	v_add_f64 v[18:19], v[46:47], v[50:51]
	v_add_f64 v[38:39], v[46:47], -v[38:39]
	v_add_f64 v[48:49], v[26:27], -v[48:49]
	;; [unrolled: 1-line block ×4, first 2 shown]
	v_add_f64 v[26:27], v[62:63], v[26:27]
	v_add_f64 v[16:17], v[64:65], v[16:17]
	;; [unrolled: 1-line block ×4, first 2 shown]
	v_mul_f64 v[30:31], v[30:31], s[10:11]
	v_mul_f64 v[36:37], v[36:37], s[10:11]
	;; [unrolled: 1-line block ×8, first 2 shown]
	v_fma_f64 v[8:9], s[18:19], v[8:9], v[0:1]
	v_fma_f64 v[18:19], s[18:19], v[18:19], v[62:63]
	v_fma_f64 v[46:47], v[54:55], s[2:3], -v[46:47]
	v_fma_f64 v[54:55], v[54:55], s[14:15], -v[30:31]
	v_fmac_f64_e32 v[30:31], s[12:13], v[28:29]
	v_fma_f64 v[28:29], v[60:61], s[14:15], -v[36:37]
	v_fmac_f64_e32 v[36:37], s[12:13], v[38:39]
	;; [unrolled: 2-line block ×4, first 2 shown]
	v_fma_f64 v[4:5], v[4:5], s[20:21], -v[78:79]
	v_fma_f64 v[50:51], v[60:61], s[2:3], -v[50:51]
	;; [unrolled: 1-line block ×3, first 2 shown]
	v_add_f64 v[30:31], v[30:31], v[8:9]
	v_add_f64 v[36:37], v[36:37], v[18:19]
	;; [unrolled: 1-line block ×4, first 2 shown]
	v_fmac_f64_e32 v[64:65], s[16:17], v[26:27]
	v_fmac_f64_e32 v[66:67], s[16:17], v[16:17]
	;; [unrolled: 1-line block ×3, first 2 shown]
	v_add_f64 v[48:49], v[50:51], v[18:19]
	v_add_f64 v[18:19], v[28:29], v[18:19]
	v_fmac_f64_e32 v[38:39], s[16:17], v[26:27]
	v_fmac_f64_e32 v[12:13], s[16:17], v[16:17]
	;; [unrolled: 1-line block ×3, first 2 shown]
	v_add_f64 v[16:17], v[66:67], v[30:31]
	v_add_f64 v[26:27], v[36:37], -v[64:65]
	v_add_f64 v[28:29], v[4:5], v[8:9]
	v_add_f64 v[4:5], v[8:9], -v[4:5]
	v_add_f64 v[8:9], v[30:31], -v[66:67]
	v_add_f64 v[30:31], v[64:65], v[36:37]
	v_mov_b32_e32 v37, 3
	v_add_f64 v[54:55], v[18:19], -v[42:43]
	v_add_f64 v[18:19], v[42:43], v[18:19]
	v_mad_u32_u24 v36, v109, s24, 0
	v_lshlrev_b32_sdwa v42, v37, v142 dst_sel:DWORD dst_unused:UNUSED_PAD src0_sel:DWORD src1_sel:BYTE_0
	v_add3_u32 v36, v36, v42, v108
	ds_write2_b64 v36, v[40:41], v[14:15] offset1:22
	ds_write2_b64 v36, v[34:35], v[44:45] offset0:44 offset1:66
	ds_write2_b64 v36, v[10:11], v[6:7] offset0:88 offset1:110
	ds_write_b64 v36, v[2:3] offset:1056
	v_mad_u32_u24 v2, v143, s24, 0
	v_lshlrev_b32_sdwa v3, v37, v144 dst_sel:DWORD dst_unused:UNUSED_PAD src0_sel:DWORD src1_sel:BYTE_0
	v_add_f64 v[50:51], v[46:47], -v[12:13]
	v_add_f64 v[12:13], v[12:13], v[46:47]
	v_add3_u32 v34, v2, v3, v108
	v_add_f64 v[60:61], v[38:39], v[48:49]
	v_add_f64 v[38:39], v[48:49], -v[38:39]
	ds_write2_b64 v34, v[0:1], v[16:17] offset1:22
	ds_write2_b64 v34, v[28:29], v[50:51] offset0:44 offset1:66
	ds_write2_b64 v34, v[12:13], v[4:5] offset0:88 offset1:110
	ds_write_b64 v34, v[8:9] offset:1056
	s_waitcnt lgkmcnt(0)
	s_barrier
	ds_read_b64 v[40:41], v106
	ds_read2_b64 v[8:11], v72 offset0:27 offset1:104
	ds_read2_b64 v[4:7], v73 offset0:53 offset1:130
	ds_read2_b64 v[0:3], v74 offset0:79 offset1:156
	ds_read_b64 v[46:47], v70
	ds_read_b64 v[48:49], v71
	ds_read2_b64 v[12:15], v75 offset0:39 offset1:193
	ds_read_b64 v[44:45], v69
	ds_read_b64 v[42:43], v68
	ds_read_b64 v[50:51], v107 offset:8008
	s_waitcnt lgkmcnt(0)
	s_barrier
	ds_write2_b64 v36, v[52:53], v[24:25] offset1:22
	ds_write2_b64 v36, v[56:57], v[58:59] offset0:44 offset1:66
	ds_write2_b64 v36, v[32:33], v[20:21] offset0:88 offset1:110
	ds_write_b64 v36, v[22:23] offset:1056
	ds_write2_b64 v34, v[62:63], v[26:27] offset1:22
	ds_write2_b64 v34, v[54:55], v[60:61] offset0:44 offset1:66
	ds_write2_b64 v34, v[38:39], v[18:19] offset0:88 offset1:110
	ds_write_b64 v34, v[30:31] offset:1056
	s_waitcnt lgkmcnt(0)
	s_barrier
	s_and_saveexec_b64 s[24:25], vcc
	s_cbranch_execz .LBB0_22
; %bb.21:
	v_mul_i32_i24_e32 v16, 6, v105
	v_mov_b32_e32 v17, 0
	v_lshl_add_u64 v[52:53], v[16:17], 4, s[4:5]
	global_load_dwordx4 v[16:19], v[52:53], off offset:2480
	global_load_dwordx4 v[20:23], v[52:53], off offset:2464
	;; [unrolled: 1-line block ×6, first 2 shown]
	v_mul_u32_u24_e32 v72, 6, v104
	v_add_u32_e32 v52, 0x1400, v107
	v_add_u32_e32 v56, 0x1000, v107
	;; [unrolled: 1-line block ×4, first 2 shown]
	v_lshlrev_b32_e32 v105, 4, v72
	ds_read_b64 v[92:93], v71
	ds_read_b64 v[96:97], v70
	;; [unrolled: 1-line block ×4, first 2 shown]
	ds_read_b64 v[102:103], v107 offset:8008
	ds_read_b64 v[106:107], v106
	ds_read2_b64 v[52:55], v52 offset0:53 offset1:130
	ds_read2_b64 v[56:59], v56 offset0:27 offset1:104
	;; [unrolled: 1-line block ×4, first 2 shown]
	global_load_dwordx4 v[68:71], v105, s[4:5] offset:2480
	global_load_dwordx4 v[72:75], v105, s[4:5] offset:2464
	;; [unrolled: 1-line block ×6, first 2 shown]
	s_waitcnt vmcnt(11)
	v_mul_f64 v[108:109], v[4:5], v[16:17]
	s_waitcnt vmcnt(10)
	v_mul_f64 v[110:111], v[8:9], v[20:21]
	;; [unrolled: 2-line block ×6, first 2 shown]
	v_mul_f64 v[4:5], v[4:5], v[18:19]
	v_mul_f64 v[14:15], v[14:15], v[26:27]
	;; [unrolled: 1-line block ×5, first 2 shown]
	s_waitcnt lgkmcnt(1)
	v_fmac_f64_e32 v[112:113], v[62:63], v[26:27]
	s_waitcnt lgkmcnt(0)
	v_fmac_f64_e32 v[114:115], v[64:65], v[38:39]
	v_fmac_f64_e32 v[116:117], v[60:61], v[30:31]
	;; [unrolled: 1-line block ×3, first 2 shown]
	v_mul_f64 v[8:9], v[8:9], v[22:23]
	v_fmac_f64_e32 v[108:109], v[52:53], v[18:19]
	v_fmac_f64_e32 v[110:111], v[56:57], v[22:23]
	v_fma_f64 v[4:5], v[52:53], v[16:17], -v[4:5]
	v_fma_f64 v[16:17], v[62:63], v[24:25], -v[14:15]
	;; [unrolled: 1-line block ×5, first 2 shown]
	v_add_f64 v[32:33], v[112:113], v[114:115]
	v_add_f64 v[34:35], v[116:117], v[118:119]
	v_fma_f64 v[8:9], v[56:57], v[20:21], -v[8:9]
	v_add_f64 v[28:29], v[16:17], v[0:1]
	v_add_f64 v[30:31], v[12:13], v[18:19]
	;; [unrolled: 1-line block ×4, first 2 shown]
	v_add_f64 v[14:15], v[108:109], -v[110:111]
	v_add_f64 v[20:21], v[112:113], -v[114:115]
	;; [unrolled: 1-line block ×3, first 2 shown]
	v_add_f64 v[24:25], v[4:5], v[8:9]
	v_add_f64 v[56:57], v[28:29], v[30:31]
	;; [unrolled: 1-line block ×4, first 2 shown]
	v_add_f64 v[38:39], v[14:15], -v[20:21]
	v_add_f64 v[50:51], v[22:23], -v[14:15]
	;; [unrolled: 1-line block ×4, first 2 shown]
	v_add_f64 v[56:57], v[24:25], v[56:57]
	v_add_f64 v[24:25], v[48:49], v[64:65]
	v_add_f64 v[4:5], v[4:5], -v[8:9]
	v_add_f64 v[0:1], v[16:17], -v[0:1]
	;; [unrolled: 1-line block ×5, first 2 shown]
	v_add_f64 v[26:27], v[92:93], v[56:57]
	v_mov_b64_e32 v[92:93], v[24:25]
	v_add_f64 v[8:9], v[4:5], v[0:1]
	v_add_f64 v[12:13], v[4:5], -v[0:1]
	v_add_f64 v[20:21], v[20:21], -v[22:23]
	;; [unrolled: 1-line block ×3, first 2 shown]
	v_add_f64 v[36:37], v[36:37], v[22:23]
	v_mul_f64 v[38:39], v[38:39], s[6:7]
	v_mul_f64 v[102:103], v[14:15], s[12:13]
	;; [unrolled: 1-line block ×4, first 2 shown]
	v_mov_b64_e32 v[48:49], v[26:27]
	v_fmac_f64_e32 v[92:93], s[18:19], v[64:65]
	v_add_f64 v[8:9], v[8:9], v[16:17]
	v_mul_f64 v[64:65], v[12:13], s[6:7]
	v_add_f64 v[4:5], v[16:17], -v[4:5]
	v_mul_f64 v[18:19], v[20:21], s[0:1]
	v_add_f64 v[22:23], v[28:29], -v[30:31]
	v_add_f64 v[28:29], v[32:33], -v[34:35]
	v_mul_f64 v[16:17], v[0:1], s[0:1]
	v_mul_f64 v[108:109], v[60:61], s[12:13]
	v_fma_f64 v[110:111], s[22:23], v[50:51], v[38:39]
	v_fma_f64 v[60:61], s[12:13], v[60:61], v[62:63]
	v_fmac_f64_e32 v[48:49], s[18:19], v[56:57]
	v_fma_f64 v[112:113], s[22:23], v[4:5], v[64:65]
	v_fma_f64 v[50:51], v[50:51], s[20:21], -v[18:19]
	v_fma_f64 v[18:19], v[22:23], s[14:15], -v[52:53]
	;; [unrolled: 1-line block ×7, first 2 shown]
	v_fma_f64 v[14:15], s[12:13], v[14:15], v[52:53]
	v_add_f64 v[60:61], v[60:61], v[92:93]
	v_fmac_f64_e32 v[112:113], s[16:17], v[8:9]
	v_fmac_f64_e32 v[50:51], s[16:17], v[36:37]
	v_add_f64 v[52:53], v[18:19], v[48:49]
	v_add_f64 v[32:33], v[30:31], v[92:93]
	v_fmac_f64_e32 v[4:5], s[16:17], v[8:9]
	v_add_f64 v[30:31], v[22:23], v[48:49]
	v_fmac_f64_e32 v[34:35], s[16:17], v[36:37]
	v_fmac_f64_e32 v[0:1], s[16:17], v[8:9]
	v_fma_f64 v[8:9], v[28:29], s[2:3], -v[108:109]
	v_fmac_f64_e32 v[110:111], s[16:17], v[36:37]
	v_add_f64 v[56:57], v[14:15], v[48:49]
	v_add_f64 v[12:13], v[60:61], -v[112:113]
	v_add_f64 v[18:19], v[50:51], v[52:53]
	v_add_f64 v[22:23], v[30:31], -v[34:35]
	v_add_f64 v[8:9], v[8:9], v[92:93]
	v_add_f64 v[30:31], v[34:35], v[30:31]
	v_add_f64 v[34:35], v[52:53], -v[50:51]
	v_add_f64 v[36:37], v[112:113], v[60:61]
	s_waitcnt vmcnt(3)
	v_mul_f64 v[48:49], v[44:45], v[76:77]
	s_waitcnt vmcnt(0)
	v_mul_f64 v[50:51], v[6:7], v[88:89]
	v_mul_f64 v[60:61], v[42:43], v[80:81]
	;; [unrolled: 1-line block ×3, first 2 shown]
	v_add_f64 v[16:17], v[32:33], -v[4:5]
	v_add_f64 v[20:21], v[0:1], v[8:9]
	v_add_f64 v[28:29], v[8:9], -v[0:1]
	v_add_f64 v[32:33], v[4:5], v[32:33]
	v_mul_f64 v[0:1], v[10:11], v[68:69]
	v_mul_f64 v[4:5], v[46:47], v[72:73]
	v_fmac_f64_e32 v[48:49], v[98:99], v[78:79]
	v_fmac_f64_e32 v[50:51], v[54:55], v[90:91]
	v_fmac_f64_e32 v[60:61], v[100:101], v[82:83]
	v_fmac_f64_e32 v[62:63], v[66:67], v[86:87]
	v_fmac_f64_e32 v[0:1], v[58:59], v[70:71]
	v_fmac_f64_e32 v[4:5], v[96:97], v[74:75]
	v_add_f64 v[52:53], v[48:49], -v[50:51]
	v_add_f64 v[64:65], v[60:61], -v[62:63]
	v_add_f64 v[48:49], v[48:49], v[50:51]
	v_add_f64 v[60:61], v[60:61], v[62:63]
	v_add_f64 v[8:9], v[0:1], -v[4:5]
	v_mul_f64 v[44:45], v[44:45], v[78:79]
	v_add_f64 v[0:1], v[0:1], v[4:5]
	v_add_f64 v[78:79], v[48:49], v[60:61]
	v_mul_f64 v[46:47], v[46:47], v[74:75]
	v_mul_f64 v[10:11], v[10:11], v[70:71]
	;; [unrolled: 1-line block ×4, first 2 shown]
	v_add_f64 v[78:79], v[0:1], v[78:79]
	v_fma_f64 v[46:47], v[96:97], v[72:73], -v[46:47]
	v_fma_f64 v[10:11], v[58:59], v[68:69], -v[10:11]
	v_mul_f64 v[6:7], v[6:7], v[90:91]
	v_fma_f64 v[42:43], v[100:101], v[80:81], -v[42:43]
	v_fma_f64 v[66:67], v[66:67], v[84:85], -v[2:3]
	v_add_f64 v[4:5], v[0:1], -v[48:49]
	v_add_f64 v[62:63], v[60:61], -v[0:1]
	v_add_f64 v[0:1], v[40:41], v[78:79]
	v_add_f64 v[58:59], v[10:11], v[46:47]
	v_fma_f64 v[44:45], v[98:99], v[76:77], -v[44:45]
	v_fma_f64 v[54:55], v[54:55], v[88:89], -v[6:7]
	v_add_f64 v[72:73], v[42:43], v[66:67]
	v_mul_f64 v[62:63], v[62:63], s[10:11]
	v_mov_b64_e32 v[40:41], v[0:1]
	v_add_f64 v[68:69], v[44:45], v[54:55]
	v_add_f64 v[2:3], v[72:73], -v[58:59]
	v_mul_f64 v[50:51], v[4:5], s[12:13]
	v_fma_f64 v[4:5], s[12:13], v[4:5], v[62:63]
	v_fmac_f64_e32 v[40:41], s[18:19], v[78:79]
	v_mul_f64 v[74:75], v[2:3], s[10:11]
	v_add_f64 v[2:3], v[68:69], v[72:73]
	v_add_f64 v[78:79], v[4:5], v[40:41]
	v_add_f64 v[4:5], v[10:11], -v[46:47]
	v_add_f64 v[44:45], v[44:45], -v[54:55]
	;; [unrolled: 1-line block ×3, first 2 shown]
	v_add_f64 v[58:59], v[58:59], v[2:3]
	v_add_f64 v[10:11], v[4:5], v[44:45]
	v_add_f64 v[42:43], v[42:43], -v[66:67]
	v_add_f64 v[14:15], v[110:111], v[56:57]
	v_add_f64 v[38:39], v[56:57], -v[110:111]
	v_add_f64 v[56:57], v[8:9], v[52:53]
	v_add_f64 v[92:93], v[8:9], -v[52:53]
	v_add_f64 v[2:3], v[106:107], v[58:59]
	v_add_f64 v[46:47], v[10:11], v[42:43]
	v_add_f64 v[10:11], v[4:5], -v[44:45]
	v_add_f64 v[52:53], v[52:53], -v[64:65]
	v_mul_f64 v[92:93], v[92:93], s[6:7]
	v_add_f64 v[8:9], v[64:65], -v[8:9]
	v_mov_b64_e32 v[76:77], v[2:3]
	v_mul_f64 v[54:55], v[10:11], s[6:7]
	v_mul_f64 v[10:11], v[52:53], s[0:1]
	v_add_f64 v[68:69], v[68:69], -v[72:73]
	v_add_f64 v[56:57], v[56:57], v[64:65]
	v_fma_f64 v[102:103], s[22:23], v[8:9], v[92:93]
	v_fmac_f64_e32 v[76:77], s[18:19], v[58:59]
	v_fma_f64 v[64:65], v[8:9], s[20:21], -v[10:11]
	v_fma_f64 v[8:9], v[68:69], s[14:15], -v[74:75]
	v_add_f64 v[48:49], v[48:49], -v[60:61]
	v_mul_f64 v[70:71], v[6:7], s[12:13]
	v_fma_f64 v[6:7], s[12:13], v[6:7], v[74:75]
	v_add_f64 v[72:73], v[8:9], v[76:77]
	v_fma_f64 v[8:9], v[48:49], s[14:15], -v[62:63]
	v_add_f64 v[44:45], v[44:45], -v[42:43]
	v_fma_f64 v[52:53], v[52:53], s[0:1], -v[92:93]
	v_fmac_f64_e32 v[102:103], s[16:17], v[56:57]
	v_add_f64 v[58:59], v[6:7], v[76:77]
	v_add_f64 v[66:67], v[42:43], -v[4:5]
	v_fmac_f64_e32 v[64:65], s[16:17], v[56:57]
	v_add_f64 v[60:61], v[8:9], v[40:41]
	v_mul_f64 v[8:9], v[44:45], s[0:1]
	v_fmac_f64_e32 v[52:53], s[16:17], v[56:57]
	v_fma_f64 v[44:45], v[44:45], s[0:1], -v[54:55]
	v_mad_u64_u32 v[56:57], s[0:1], s8, v104, 0
	v_add_f64 v[6:7], v[102:103], v[58:59]
	v_fma_f64 v[80:81], s[22:23], v[66:67], v[54:55]
	v_add_f64 v[54:55], v[58:59], -v[102:103]
	v_mov_b32_e32 v58, v57
	v_mad_u64_u32 v[58:59], s[0:1], s9, v104, v[58:59]
	v_mov_b32_e32 v57, v58
	v_lshl_add_u64 v[56:57], v[56:57], 4, v[94:95]
	global_store_dwordx4 v[56:57], v[0:3], off
	v_fma_f64 v[62:63], v[66:67], s[20:21], -v[8:9]
	v_fma_f64 v[42:43], v[68:69], s[2:3], -v[70:71]
	v_add_u32_e32 v3, 0x9a, v104
	v_mad_u64_u32 v[0:1], s[0:1], s8, v3, 0
	v_mov_b32_e32 v2, v1
	v_mad_u64_u32 v[2:3], s[0:1], s9, v3, v[2:3]
	v_fmac_f64_e32 v[80:81], s[16:17], v[46:47]
	v_fmac_f64_e32 v[62:63], s[16:17], v[46:47]
	v_add_f64 v[66:67], v[42:43], v[76:77]
	v_fmac_f64_e32 v[44:45], s[16:17], v[46:47]
	v_fma_f64 v[46:47], v[48:49], s[2:3], -v[50:51]
	v_mov_b32_e32 v1, v2
	v_add_f64 v[42:43], v[66:67], -v[52:53]
	v_add_f64 v[48:49], v[46:47], v[40:41]
	v_add_f64 v[46:47], v[52:53], v[66:67]
	;; [unrolled: 1-line block ×3, first 2 shown]
	v_lshl_add_u64 v[0:1], v[0:1], 4, v[94:95]
	v_add_u32_e32 v3, 0x134, v104
	global_store_dwordx4 v[0:1], v[52:55], off
	v_mad_u64_u32 v[0:1], s[0:1], s8, v3, 0
	v_mov_b32_e32 v2, v1
	v_mad_u64_u32 v[2:3], s[0:1], s9, v3, v[2:3]
	v_mov_b32_e32 v1, v2
	v_add_f64 v[40:41], v[44:45], v[48:49]
	v_add_f64 v[44:45], v[48:49], -v[44:45]
	v_add_f64 v[50:51], v[72:73], -v[64:65]
	v_add_f64 v[48:49], v[62:63], v[60:61]
	v_lshl_add_u64 v[0:1], v[0:1], 4, v[94:95]
	v_add_u32_e32 v3, 0x1ce, v104
	global_store_dwordx4 v[0:1], v[48:51], off
	v_mad_u64_u32 v[0:1], s[0:1], s8, v3, 0
	v_mov_b32_e32 v2, v1
	v_mad_u64_u32 v[2:3], s[0:1], s9, v3, v[2:3]
	v_mov_b32_e32 v1, v2
	v_lshl_add_u64 v[0:1], v[0:1], 4, v[94:95]
	v_add_u32_e32 v3, 0x268, v104
	global_store_dwordx4 v[0:1], v[44:47], off
	v_mad_u64_u32 v[0:1], s[0:1], s8, v3, 0
	v_mov_b32_e32 v2, v1
	v_mad_u64_u32 v[2:3], s[0:1], s9, v3, v[2:3]
	v_mov_b32_e32 v1, v2
	;; [unrolled: 7-line block ×3, first 2 shown]
	v_add_f64 v[10:11], v[64:65], v[72:73]
	v_add_f64 v[8:9], v[60:61], -v[62:63]
	v_lshl_add_u64 v[0:1], v[0:1], 4, v[94:95]
	v_add_u32_e32 v3, 0x39c, v104
	global_store_dwordx4 v[0:1], v[8:11], off
	v_mad_u64_u32 v[0:1], s[0:1], s8, v3, 0
	v_mov_b32_e32 v2, v1
	v_mad_u64_u32 v[2:3], s[0:1], s9, v3, v[2:3]
	v_mov_b32_e32 v1, v2
	v_add_f64 v[4:5], v[78:79], -v[80:81]
	v_lshl_add_u64 v[0:1], v[0:1], 4, v[94:95]
	global_store_dwordx4 v[0:1], v[4:7], off
	v_add_u32_e32 v0, 0x4d, v104
	s_mov_b32 s0, 0x3531dec1
	v_mul_hi_u32 v1, v0, s0
	s_movk_i32 s2, 0x39c
	v_lshrrev_b32_e32 v1, 5, v1
	v_mad_u32_u24 v4, v1, s2, v0
	v_mad_u64_u32 v[0:1], s[0:1], s8, v4, 0
	v_mov_b32_e32 v2, v1
	v_mad_u64_u32 v[2:3], s[0:1], s9, v4, v[2:3]
	v_mov_b32_e32 v1, v2
	v_lshl_add_u64 v[0:1], v[0:1], 4, v[94:95]
	v_add_u32_e32 v3, 0x9a, v4
	global_store_dwordx4 v[0:1], v[24:27], off
	v_mad_u64_u32 v[0:1], s[0:1], s8, v3, 0
	v_mov_b32_e32 v2, v1
	v_mad_u64_u32 v[2:3], s[0:1], s9, v3, v[2:3]
	v_mov_b32_e32 v1, v2
	v_lshl_add_u64 v[0:1], v[0:1], 4, v[94:95]
	v_add_u32_e32 v3, 0x134, v4
	global_store_dwordx4 v[0:1], v[36:39], off
	;; [unrolled: 7-line block ×6, first 2 shown]
	v_mad_u64_u32 v[0:1], s[0:1], s8, v3, 0
	v_mov_b32_e32 v2, v1
	v_mad_u64_u32 v[2:3], s[0:1], s9, v3, v[2:3]
	v_mov_b32_e32 v1, v2
	v_lshl_add_u64 v[0:1], v[0:1], 4, v[94:95]
	global_store_dwordx4 v[0:1], v[12:15], off
.LBB0_22:
	s_endpgm
	.section	.rodata,"a",@progbits
	.p2align	6, 0x0
	.amdhsa_kernel fft_rtc_back_len1078_factors_2_11_7_7_wgs_231_tpt_77_halfLds_dp_ip_CI_sbrr_dirReg
		.amdhsa_group_segment_fixed_size 0
		.amdhsa_private_segment_fixed_size 0
		.amdhsa_kernarg_size 88
		.amdhsa_user_sgpr_count 2
		.amdhsa_user_sgpr_dispatch_ptr 0
		.amdhsa_user_sgpr_queue_ptr 0
		.amdhsa_user_sgpr_kernarg_segment_ptr 1
		.amdhsa_user_sgpr_dispatch_id 0
		.amdhsa_user_sgpr_kernarg_preload_length 0
		.amdhsa_user_sgpr_kernarg_preload_offset 0
		.amdhsa_user_sgpr_private_segment_size 0
		.amdhsa_uses_dynamic_stack 0
		.amdhsa_enable_private_segment 0
		.amdhsa_system_sgpr_workgroup_id_x 1
		.amdhsa_system_sgpr_workgroup_id_y 0
		.amdhsa_system_sgpr_workgroup_id_z 0
		.amdhsa_system_sgpr_workgroup_info 0
		.amdhsa_system_vgpr_workitem_id 0
		.amdhsa_next_free_vgpr 152
		.amdhsa_next_free_sgpr 38
		.amdhsa_accum_offset 152
		.amdhsa_reserve_vcc 1
		.amdhsa_float_round_mode_32 0
		.amdhsa_float_round_mode_16_64 0
		.amdhsa_float_denorm_mode_32 3
		.amdhsa_float_denorm_mode_16_64 3
		.amdhsa_dx10_clamp 1
		.amdhsa_ieee_mode 1
		.amdhsa_fp16_overflow 0
		.amdhsa_tg_split 0
		.amdhsa_exception_fp_ieee_invalid_op 0
		.amdhsa_exception_fp_denorm_src 0
		.amdhsa_exception_fp_ieee_div_zero 0
		.amdhsa_exception_fp_ieee_overflow 0
		.amdhsa_exception_fp_ieee_underflow 0
		.amdhsa_exception_fp_ieee_inexact 0
		.amdhsa_exception_int_div_zero 0
	.end_amdhsa_kernel
	.text
.Lfunc_end0:
	.size	fft_rtc_back_len1078_factors_2_11_7_7_wgs_231_tpt_77_halfLds_dp_ip_CI_sbrr_dirReg, .Lfunc_end0-fft_rtc_back_len1078_factors_2_11_7_7_wgs_231_tpt_77_halfLds_dp_ip_CI_sbrr_dirReg
                                        ; -- End function
	.section	.AMDGPU.csdata,"",@progbits
; Kernel info:
; codeLenInByte = 13676
; NumSgprs: 44
; NumVgprs: 152
; NumAgprs: 0
; TotalNumVgprs: 152
; ScratchSize: 0
; MemoryBound: 1
; FloatMode: 240
; IeeeMode: 1
; LDSByteSize: 0 bytes/workgroup (compile time only)
; SGPRBlocks: 5
; VGPRBlocks: 18
; NumSGPRsForWavesPerEU: 44
; NumVGPRsForWavesPerEU: 152
; AccumOffset: 152
; Occupancy: 3
; WaveLimiterHint : 1
; COMPUTE_PGM_RSRC2:SCRATCH_EN: 0
; COMPUTE_PGM_RSRC2:USER_SGPR: 2
; COMPUTE_PGM_RSRC2:TRAP_HANDLER: 0
; COMPUTE_PGM_RSRC2:TGID_X_EN: 1
; COMPUTE_PGM_RSRC2:TGID_Y_EN: 0
; COMPUTE_PGM_RSRC2:TGID_Z_EN: 0
; COMPUTE_PGM_RSRC2:TIDIG_COMP_CNT: 0
; COMPUTE_PGM_RSRC3_GFX90A:ACCUM_OFFSET: 37
; COMPUTE_PGM_RSRC3_GFX90A:TG_SPLIT: 0
	.text
	.p2alignl 6, 3212836864
	.fill 256, 4, 3212836864
	.type	__hip_cuid_da8a081b704db099,@object ; @__hip_cuid_da8a081b704db099
	.section	.bss,"aw",@nobits
	.globl	__hip_cuid_da8a081b704db099
__hip_cuid_da8a081b704db099:
	.byte	0                               ; 0x0
	.size	__hip_cuid_da8a081b704db099, 1

	.ident	"AMD clang version 19.0.0git (https://github.com/RadeonOpenCompute/llvm-project roc-6.4.0 25133 c7fe45cf4b819c5991fe208aaa96edf142730f1d)"
	.section	".note.GNU-stack","",@progbits
	.addrsig
	.addrsig_sym __hip_cuid_da8a081b704db099
	.amdgpu_metadata
---
amdhsa.kernels:
  - .agpr_count:     0
    .args:
      - .actual_access:  read_only
        .address_space:  global
        .offset:         0
        .size:           8
        .value_kind:     global_buffer
      - .offset:         8
        .size:           8
        .value_kind:     by_value
      - .actual_access:  read_only
        .address_space:  global
        .offset:         16
        .size:           8
        .value_kind:     global_buffer
      - .actual_access:  read_only
        .address_space:  global
        .offset:         24
        .size:           8
        .value_kind:     global_buffer
      - .offset:         32
        .size:           8
        .value_kind:     by_value
      - .actual_access:  read_only
        .address_space:  global
        .offset:         40
        .size:           8
        .value_kind:     global_buffer
      - .actual_access:  read_only
        .address_space:  global
        .offset:         48
        .size:           8
        .value_kind:     global_buffer
      - .offset:         56
        .size:           4
        .value_kind:     by_value
      - .actual_access:  read_only
        .address_space:  global
        .offset:         64
        .size:           8
        .value_kind:     global_buffer
      - .actual_access:  read_only
        .address_space:  global
        .offset:         72
        .size:           8
        .value_kind:     global_buffer
      - .address_space:  global
        .offset:         80
        .size:           8
        .value_kind:     global_buffer
    .group_segment_fixed_size: 0
    .kernarg_segment_align: 8
    .kernarg_segment_size: 88
    .language:       OpenCL C
    .language_version:
      - 2
      - 0
    .max_flat_workgroup_size: 231
    .name:           fft_rtc_back_len1078_factors_2_11_7_7_wgs_231_tpt_77_halfLds_dp_ip_CI_sbrr_dirReg
    .private_segment_fixed_size: 0
    .sgpr_count:     44
    .sgpr_spill_count: 0
    .symbol:         fft_rtc_back_len1078_factors_2_11_7_7_wgs_231_tpt_77_halfLds_dp_ip_CI_sbrr_dirReg.kd
    .uniform_work_group_size: 1
    .uses_dynamic_stack: false
    .vgpr_count:     152
    .vgpr_spill_count: 0
    .wavefront_size: 64
amdhsa.target:   amdgcn-amd-amdhsa--gfx950
amdhsa.version:
  - 1
  - 2
...

	.end_amdgpu_metadata
